;; amdgpu-corpus repo=ROCm/aiter kind=harvested arch=n/a opt=n/a

/root/src/amdgpu-assembly/repos/ROCm__aiter/hsa/gfx950/fmoe_2stages/fmoe_stage1_bf16_pertokenFp8_g1u1_16x512_pf3.co:	file format elf64-amdgpu

Disassembly of section .text:

0000000000002a00 <_ZN5aiter44fmoe_stage1_bf16_pertokenFp8_g1u1_16x512_pf3E>:
	s_and_b32 s1, s1, 0xffff                                   // 000000002A00: 8601FF01 0000FFFF
	s_load_dwordx2 s[8:9], s[0:1], 0x0                         // 000000002A08: C0060200 00000000
	s_load_dwordx2 s[20:21], s[0:1], 0x10                      // 000000002A10: C0060500 00000010
	s_load_dwordx2 s[24:25], s[0:1], 0x20                      // 000000002A18: C0060600 00000020
	s_load_dwordx2 s[48:49], s[0:1], 0x30                      // 000000002A20: C0060C00 00000030
	s_load_dwordx2 s[28:29], s[0:1], 0x40                      // 000000002A28: C0060700 00000040
	s_load_dwordx2 s[32:33], s[0:1], 0x50                      // 000000002A30: C0060800 00000050
	s_load_dwordx2 s[36:37], s[0:1], 0x60                      // 000000002A38: C0060900 00000060
	s_load_dwordx2 s[12:13], s[0:1], 0x70                      // 000000002A40: C0060300 00000070
	s_load_dwordx2 s[44:45], s[0:1], 0x80                      // 000000002A48: C0060B00 00000080
	s_mov_b32 s89, 0                                           // 000000002A50: BED90080
	s_load_dword s64, s[0:1], 0x90                             // 000000002A54: C0021000 00000090
	s_load_dword s65, s[0:1], 0xa0                             // 000000002A5C: C0021040 000000A0
	s_load_dword s66, s[0:1], 0xb0                             // 000000002A64: C0021080 000000B0
	s_load_dword s67, s[0:1], 0xc0                             // 000000002A6C: C00210C0 000000C0
	s_load_dword s68, s[0:1], 0xd0                             // 000000002A74: C0021100 000000D0
	s_load_dword s69, s[0:1], 0xe0                             // 000000002A7C: C0021140 000000E0
	s_load_dword s71, s[0:1], 0xf0                             // 000000002A84: C00211C0 000000F0
	s_load_dword s72, s[0:1], 0x100                            // 000000002A8C: C0021200 00000100
	s_load_dword s74, s[0:1], 0x110                            // 000000002A94: C0021280 00000110
	s_load_dword s76, s[0:1], 0x120                            // 000000002A9C: C0021300 00000120
	s_load_dword s56, s[0:1], 0x130                            // 000000002AA4: C0020E00 00000130
	s_load_dword s88, s[0:1], 0x140                            // 000000002AAC: C0021600 00000140
	s_load_dword s89, s[0:1], 0x150                            // 000000002AB4: C0021640 00000150
	v_lshrrev_b32_e32 v1, 10, v0                               // 000000002ABC: 2002008A
	v_lshrrev_b32_e32 v2, 10, v1                               // 000000002AC0: 2004028A
	v_and_b32_e32 v2, 0x3ff, v2                                // 000000002AC4: 260404FF 000003FF
	v_and_b32_e32 v1, 0x3ff, v1                                // 000000002ACC: 260202FF 000003FF
	v_and_b32_e32 v0, 0x3ff, v0                                // 000000002AD4: 260000FF 000003FF
	v_lshrrev_b32_e32 v3, 6, v0                                // 000000002ADC: 20060086
	v_and_b32_e32 v0, 63, v0                                   // 000000002AE0: 260000BF
	s_mov_b32 s2, s2                                           // 000000002AE4: BE820002
	s_mov_b32 s3, s3                                           // 000000002AE8: BE830003
	s_mov_b32 s4, s4                                           // 000000002AEC: BE840004
	v_readfirstlane_b32 s7, v3                                 // 000000002AF0: 7E0E0503
	s_waitcnt lgkmcnt(0)                                       // 000000002AF4: BF8CC07F
	s_and_b32 s49, s49, 0xffff                                 // 000000002AF8: 8631FF31 0000FFFF
	s_load_dword s48, s[48:49], 0x0                            // 000000002B00: C0020C18 00000000
	s_and_b32 s45, s45, 0xffff                                 // 000000002B08: 862DFF2D 0000FFFF
	s_and_b32 s9, s9, 0xffff                                   // 000000002B10: 8609FF09 0000FFFF
	s_mul_i32 s60, s66, s68                                    // 000000002B18: 923C4442
	s_mul_i32 s61, s66, 4                                      // 000000002B1C: 923D8442
	s_mov_b32 s22, s60                                         // 000000002B20: BE96003C
	s_mov_b32 s26, -16                                         // 000000002B24: BE9A00D0
	s_mov_b32 s30, s61                                         // 000000002B28: BE9E003D
	s_mov_b32 s14, 64                                          // 000000002B2C: BE8E00C0
	s_mov_b32 s38, -16                                         // 000000002B30: BEA600D0
	s_mov_b32 s10, -16                                         // 000000002B34: BE8A00D0
	s_mov_b32 s34, 0x800                                       // 000000002B38: BEA200FF 00000800
	s_mov_b32 s23, 0x20000                                     // 000000002B40: BE9700FF 00020000
	s_mov_b32 s27, 0x20000                                     // 000000002B48: BE9B00FF 00020000
	s_mov_b32 s31, 0x20000                                     // 000000002B50: BE9F00FF 00020000
	s_mov_b32 s35, 0x20000                                     // 000000002B58: BEA300FF 00020000
	s_mov_b32 s15, 0x20000                                     // 000000002B60: BE8F00FF 00020000
	s_mov_b32 s39, 0x20000                                     // 000000002B68: BEA700FF 00020000
	s_mov_b32 s11, 0x20000                                     // 000000002B70: BE8B00FF 00020000
	s_and_b32 s21, s21, 0xffff                                 // 000000002B78: 8615FF15 0000FFFF
	s_and_b32 s25, s25, 0xffff                                 // 000000002B80: 8619FF19 0000FFFF
	s_and_b32 s29, s29, 0xffff                                 // 000000002B88: 861DFF1D 0000FFFF
	s_and_b32 s33, s33, 0xffff                                 // 000000002B90: 8621FF21 0000FFFF
	s_and_b32 s13, s13, 0xffff                                 // 000000002B98: 860DFF0D 0000FFFF
	s_and_b32 s37, s37, 0xffff                                 // 000000002BA0: 8625FF25 0000FFFF
	s_or_b32 s21, s21, 0x40000                                 // 000000002BA8: 8715FF15 00040000
	s_or_b32 s25, s25, 0x40000                                 // 000000002BB0: 8719FF19 00040000
	s_or_b32 s29, s29, 0x40000                                 // 000000002BB8: 871DFF1D 00040000
	s_or_b32 s33, s33, 0x40000                                 // 000000002BC0: 8721FF21 00040000
	s_or_b32 s13, s13, 0x40000                                 // 000000002BC8: 870DFF0D 00040000
	s_or_b32 s37, s37, 0x40000                                 // 000000002BD0: 8725FF25 00040000
	v_accvgpr_write_b32 a207, 0                                // 000000002BD8: D3D940CF 18000080
	v_mov_b32_e32 v111, 0                                      // 000000002BE0: 7EDE0280
	s_waitcnt lgkmcnt(0)                                       // 000000002BE4: BF8CC07F
	s_mul_i32 s60, s3, 16                                      // 000000002BE8: 923C9003
	s_cmp_lt_i32 s60, s48                                      // 000000002BEC: BF04303C
	s_cbranch_scc0 label_1A08                                  // 000000002BF0: BF841988
	s_mov_b32 s80, 0                                           // 000000002BF4: BED00080
	s_lshr_b32 s81, s64, s88                                   // 000000002BF8: 8F515840
	s_mul_i32 s60, s3, 4                                       // 000000002BFC: 923C8403
	s_add_u32 s44, s60, s44                                    // 000000002C00: 802C2C3C
	s_addc_u32 s45, 0, s45                                     // 000000002C04: 822D2D80
	s_load_dword s5, s[44:45], 0x0                             // 000000002C08: C0020156 00000000
	s_mul_i32 s60, s3, 16                                      // 000000002C10: 923C9003
	s_mul_i32 s60, 4, s60                                      // 000000002C14: 923C3C84
	s_add_u32 s12, s60, s12                                    // 000000002C18: 800C0C3C
	s_addc_u32 s13, 0, s13                                     // 000000002C1C: 820D0D80
	v_and_b32_e32 v4, 15, v0                                   // 000000002C20: 2608008F
	v_lshlrev_b32_e32 v4, 2, v4                                // 000000002C24: 24080882
	buffer_load_dword v31, v4, s[12:15], 0 offen               // 000000002C28: E0501000 80031F04
	v_add_u32_e32 v4, 64, v4                                   // 000000002C30: 680808C0
	s_mul_i32 s60, 4, s7                                       // 000000002C34: 923C0784
	v_lshlrev_b32_e32 v4, 4, v0                                // 000000002C38: 24080084
	v_add_u32_e32 v4, s60, v4                                  // 000000002C3C: 6808083C
	buffer_load_dword v3, v4, s[12:15], 0 offen                // 000000002C40: E0501000 80030304
	v_mov_b32_e32 v48, 0                                       // 000000002C48: 7E600280
	v_mov_b32_e32 v80, 0                                       // 000000002C4C: 7EA00280
	v_mov_b32_e32 v49, 0                                       // 000000002C50: 7E620280
	v_mov_b32_e32 v81, 0                                       // 000000002C54: 7EA20280
	v_mov_b32_e32 v50, 0                                       // 000000002C58: 7E640280
	v_mov_b32_e32 v82, 0                                       // 000000002C5C: 7EA40280
	v_mov_b32_e32 v51, 0                                       // 000000002C60: 7E660280
	v_mov_b32_e32 v83, 0                                       // 000000002C64: 7EA60280
	v_mov_b32_e32 v52, 0                                       // 000000002C68: 7E680280
	v_mov_b32_e32 v84, 0                                       // 000000002C6C: 7EA80280
	v_mov_b32_e32 v53, 0                                       // 000000002C70: 7E6A0280
	v_mov_b32_e32 v85, 0                                       // 000000002C74: 7EAA0280
	v_mov_b32_e32 v54, 0                                       // 000000002C78: 7E6C0280
	v_mov_b32_e32 v86, 0                                       // 000000002C7C: 7EAC0280
	v_mov_b32_e32 v55, 0                                       // 000000002C80: 7E6E0280
	v_mov_b32_e32 v87, 0                                       // 000000002C84: 7EAE0280
	v_mov_b32_e32 v56, 0                                       // 000000002C88: 7E700280
	v_mov_b32_e32 v88, 0                                       // 000000002C8C: 7EB00280
	v_mov_b32_e32 v57, 0                                       // 000000002C90: 7E720280
	v_mov_b32_e32 v89, 0                                       // 000000002C94: 7EB20280
	v_mov_b32_e32 v58, 0                                       // 000000002C98: 7E740280
	v_mov_b32_e32 v90, 0                                       // 000000002C9C: 7EB40280
	v_mov_b32_e32 v59, 0                                       // 000000002CA0: 7E760280
	v_mov_b32_e32 v91, 0                                       // 000000002CA4: 7EB60280
	v_mov_b32_e32 v60, 0                                       // 000000002CA8: 7E780280
	v_mov_b32_e32 v92, 0                                       // 000000002CAC: 7EB80280
	v_mov_b32_e32 v61, 0                                       // 000000002CB0: 7E7A0280
	v_mov_b32_e32 v93, 0                                       // 000000002CB4: 7EBA0280
	v_mov_b32_e32 v62, 0                                       // 000000002CB8: 7E7C0280
	v_mov_b32_e32 v94, 0                                       // 000000002CBC: 7EBC0280
	v_mov_b32_e32 v63, 0                                       // 000000002CC0: 7E7E0280
	v_mov_b32_e32 v95, 0                                       // 000000002CC4: 7EBE0280
	v_mov_b32_e32 v64, 0                                       // 000000002CC8: 7E800280
	v_mov_b32_e32 v96, 0                                       // 000000002CCC: 7EC00280
	v_mov_b32_e32 v65, 0                                       // 000000002CD0: 7E820280
	v_mov_b32_e32 v97, 0                                       // 000000002CD4: 7EC20280
	v_mov_b32_e32 v66, 0                                       // 000000002CD8: 7E840280
	v_mov_b32_e32 v98, 0                                       // 000000002CDC: 7EC40280
	v_mov_b32_e32 v67, 0                                       // 000000002CE0: 7E860280
	v_mov_b32_e32 v99, 0                                       // 000000002CE4: 7EC60280
	v_mov_b32_e32 v68, 0                                       // 000000002CE8: 7E880280
	v_mov_b32_e32 v100, 0                                      // 000000002CEC: 7EC80280
	v_mov_b32_e32 v69, 0                                       // 000000002CF0: 7E8A0280
	v_mov_b32_e32 v101, 0                                      // 000000002CF4: 7ECA0280
	v_mov_b32_e32 v70, 0                                       // 000000002CF8: 7E8C0280
	v_mov_b32_e32 v102, 0                                      // 000000002CFC: 7ECC0280
	v_mov_b32_e32 v71, 0                                       // 000000002D00: 7E8E0280
	v_mov_b32_e32 v103, 0                                      // 000000002D04: 7ECE0280
	v_mov_b32_e32 v72, 0                                       // 000000002D08: 7E900280
	v_mov_b32_e32 v104, 0                                      // 000000002D0C: 7ED00280
	v_mov_b32_e32 v73, 0                                       // 000000002D10: 7E920280
	v_mov_b32_e32 v105, 0                                      // 000000002D14: 7ED20280
	v_mov_b32_e32 v74, 0                                       // 000000002D18: 7E940280
	v_mov_b32_e32 v106, 0                                      // 000000002D1C: 7ED40280
	v_mov_b32_e32 v75, 0                                       // 000000002D20: 7E960280
	v_mov_b32_e32 v107, 0                                      // 000000002D24: 7ED60280
	v_mov_b32_e32 v76, 0                                       // 000000002D28: 7E980280
	v_mov_b32_e32 v108, 0                                      // 000000002D2C: 7ED80280
	v_mov_b32_e32 v77, 0                                       // 000000002D30: 7E9A0280
	v_mov_b32_e32 v109, 0                                      // 000000002D34: 7EDA0280
	v_mov_b32_e32 v78, 0                                       // 000000002D38: 7E9C0280
	v_mov_b32_e32 v110, 0                                      // 000000002D3C: 7EDC0280
	v_mov_b32_e32 v79, 0                                       // 000000002D40: 7E9E0280
	v_mov_b32_e32 v111, 0                                      // 000000002D44: 7EDE0280
	s_mul_i32 s60, s2, 0x400                                   // 000000002D48: 923CFF02 00000400
	s_cmp_eq_u32 s88, 0                                        // 000000002D50: BF068058
	s_cselect_b32 s61, 1, 2                                    // 000000002D54: 853D8281
	s_mul_i32 s60, s60, s61                                    // 000000002D58: 923C3D3C
	s_mov_b32 s90, s8                                          // 000000002D5C: BEDA0008
	s_mov_b32 s91, s9                                          // 000000002D60: BEDB0009
	s_add_u32 s8, s60, s8                                      // 000000002D64: 8008083C
	s_addc_u32 s9, 0, s9                                       // 000000002D68: 82090980
	v_lshrrev_b32_e32 v4, 4, v0                                // 000000002D6C: 20080084
	v_mul_lo_u32 v20, 34, v4                                   // 000000002D70: D2850014 000208A2
	v_and_b32_e32 v4, 15, v0                                   // 000000002D78: 2608008F
	v_mul_lo_u32 v5, 2, v4                                     // 000000002D7C: D2850005 00020882
	v_add_u32_e32 v20, v5, v20                                 // 000000002D84: 68282905
	s_mul_i32 s60, s7, 0x88                                    // 000000002D88: 923CFF07 00000088
	v_add_u32_e32 v20, s60, v20                                // 000000002D90: 6828283C
	v_lshlrev_b32_e32 v20, 2, v20                              // 000000002D94: 24282882
	v_and_b32_e32 v4, 31, v0                                   // 000000002D98: 2608009F
	v_lshrrev_b32_e32 v4, 1, v4                                // 000000002D9C: 20080881
	v_mul_lo_u32 v21, 34, v4                                   // 000000002DA0: D2850015 000208A2
	v_lshrrev_b32_e32 v4, 5, v0                                // 000000002DA8: 20080085
	v_mul_lo_u32 v4, 8, v4                                     // 000000002DAC: D2850004 00020888
	v_add_u32_e32 v21, v21, v4                                 // 000000002DB4: 682A0915
	v_and_b32_e32 v5, 1, v0                                    // 000000002DB8: 260A0081
	v_add_u32_e32 v21, v5, v21                                 // 000000002DBC: 682A2B05
	s_mul_i32 s60, s7, 2                                       // 000000002DC0: 923C8207
	v_add_u32_e32 v21, s60, v21                                // 000000002DC4: 682A2A3C
	v_lshlrev_b32_e32 v21, 2, v21                              // 000000002DC8: 242A2A82
	s_mul_i32 s60, s7, 0x220                                   // 000000002DCC: 923CFF07 00000220
	s_add_u32 s48, 0, s60                                      // 000000002DD4: 80303C80
	s_add_u32 s49, 0x880, s48                                  // 000000002DD8: 803130FF 00000880
	s_add_u32 s50, 0x880, s49                                  // 000000002DE0: 803231FF 00000880
	v_lshrrev_b32_e32 v4, 4, v0                                // 000000002DE8: 20080084
	v_lshlrev_b32_e32 v5, 2, v4                                // 000000002DEC: 240A0882
	v_and_b32_e32 v4, 15, v0                                   // 000000002DF0: 2608008F
	v_lshrrev_b32_e32 v6, 2, v4                                // 000000002DF4: 200C0882
	v_lshlrev_b32_e32 v6, 5, v6                                // 000000002DF8: 240C0C85
	v_add_u32_e32 v5, v6, v5                                   // 000000002DFC: 680A0B06
	v_and_b32_e32 v4, 3, v0                                    // 000000002E00: 26080083
	v_mul_u32_u24_e32 v6, 0x88, v4                             // 000000002E04: 100C08FF 00000088
	v_add_u32_e32 v5, v6, v5                                   // 000000002E0C: 680A0B06
	v_lshlrev_b32_e32 v2, 2, v5                                // 000000002E10: 24040A82
	s_waitcnt lgkmcnt(0)                                       // 000000002E14: BF8CC07F
	s_mul_i32 s60, s2, 0x200                                   // 000000002E18: 923CFF02 00000200
	s_mul_i32 s60, s60, s69                                    // 000000002E20: 923C453C
	s_mul_i32 s61, s5, s72                                     // 000000002E24: 923D4805
	s_add_u32 s60, s61, s60                                    // 000000002E28: 803C3C3D
	s_add_u32 s24, s60, s24                                    // 000000002E2C: 8018183C
	s_addc_u32 s25, 0, s25                                     // 000000002E30: 82191980
	s_lshr_b32 s60, s64, s88                                   // 000000002E34: 8F3C5840
	s_mul_i32 s60, s4, s60                                     // 000000002E38: 923C3C04
	s_lshr_b32 s60, s60, 7                                     // 000000002E3C: 8F3C873C
	s_mul_i32 s60, s60, 0x800                                  // 000000002E40: 923CFF3C 00000800
	s_add_u32 s24, s60, s24                                    // 000000002E48: 8018183C
	s_addc_u32 s25, 0, s25                                     // 000000002E4C: 82191980
	s_lshr_b32 s60, s69, s88                                   // 000000002E50: 8F3C5845
	s_mul_i32 s60, s4, s60                                     // 000000002E54: 923C3C04
	s_add_u32 s20, s60, s20                                    // 000000002E58: 8014143C
	s_addc_u32 s21, 0, s21                                     // 000000002E5C: 82151580
	s_mul_i32 s60, s7, 16                                      // 000000002E60: 923C9007
	s_mul_i32 s60, s60, s69                                    // 000000002E64: 923C453C
	v_lshlrev_b32_e32 v37, 4, v0                               // 000000002E68: 244A0084
	v_add_u32_e32 v37, s60, v37                                // 000000002E6C: 684A4A3C
	s_mul_i32 s60, 64, s69                                     // 000000002E70: 923C45C0
	v_add_u32_e32 v38, s60, v37                                // 000000002E74: 684C4A3C
	v_add_u32_e32 v39, s60, v38                                // 000000002E78: 684E4C3C
	v_add_u32_e32 v40, s60, v39                                // 000000002E7C: 68504E3C
	v_add_u32_e32 v41, s60, v40                                // 000000002E80: 6852503C
	v_add_u32_e32 v42, s60, v41                                // 000000002E84: 6854523C
	v_add_u32_e32 v43, s60, v42                                // 000000002E88: 6856543C
	v_add_u32_e32 v44, s60, v43                                // 000000002E8C: 6858563C
	s_mov_b32 s84, s24                                         // 000000002E90: BED40018
	s_mov_b32 s85, s25                                         // 000000002E94: BED50019
	s_mov_b32 s86, s26                                         // 000000002E98: BED6001A
	s_mov_b32 s87, s27                                         // 000000002E9C: BED7001B
	s_mul_i32 s60, s69, s65                                    // 000000002EA0: 923C4145
	s_add_u32 s84, s60, s84                                    // 000000002EA4: 8054543C
	s_addc_u32 s85, 0, s85                                     // 000000002EA8: 82555580
	v_lshrrev_b32_e32 v4, 4, v0                                // 000000002EAC: 20080084
	v_lshlrev_b32_e32 v5, 2, v4                                // 000000002EB0: 240A0882
	v_and_b32_e32 v4, 15, v0                                   // 000000002EB4: 2608008F
	v_lshrrev_b32_e32 v6, 2, v4                                // 000000002EB8: 200C0882
	v_lshlrev_b32_e32 v6, 6, v6                                // 000000002EBC: 240C0C86
	v_add_u32_e32 v5, v6, v5                                   // 000000002EC0: 680A0B06
	v_and_b32_e32 v4, 3, v0                                    // 000000002EC4: 26080083
	v_add_u32_e32 v5, v4, v5                                   // 000000002EC8: 680A0B04
	v_lshlrev_b32_e32 v22, 2, v5                               // 000000002ECC: 242C0A82
	v_add_u32_e32 v23, 0x400, v22                              // 000000002ED0: 682E2CFF 00000400
	s_mul_i32 s60, s7, 16                                      // 000000002ED8: 923C9007
	s_mul_i32 s60, s60, 4                                      // 000000002EDC: 923C843C
	v_add_u32_e32 v22, s60, v22                                // 000000002EE0: 682C2C3C
	v_add_u32_e32 v23, s60, v23                                // 000000002EE4: 682E2E3C
	s_mul_i32 s60, s2, 0x200                                   // 000000002EE8: 923CFF02 00000200
	s_mul_i32 s60, s60, 4                                      // 000000002EF0: 923C843C
	s_mul_i32 s61, s5, s74                                     // 000000002EF4: 923D4A05
	s_add_u32 s61, s61, s60                                    // 000000002EF8: 803D3C3D
	s_add_u32 s32, s61, s32                                    // 000000002EFC: 8020203D
	s_addc_u32 s33, 0, s33                                     // 000000002F00: 82212180
	s_mov_b32 s57, 0x80                                        // 000000002F04: BEB900FF 00000080
	s_mov_b32 s58, 0x800                                       // 000000002F0C: BEBA00FF 00000800
	s_mov_b32 s83, s58                                         // 000000002F14: BED3003A
	s_mov_b32 s52, 0x7060302                                   // 000000002F18: BEB400FF 07060302
	s_mov_b32 s53, 0x400                                       // 000000002F20: BEB500FF 00000400
	s_mov_b32 s54, 0x40100                                     // 000000002F28: BEB600FF 00040100
	s_mov_b32 s55, 0x4020100                                   // 000000002F30: BEB700FF 04020100
	s_mov_b32 s6, 0x3fb8aa3b                                   // 000000002F38: BE8600FF 3FB8AA3B
	s_mov_b32 s78, 0xbd92220c                                  // 000000002F40: BECE00FF BD92220C
	s_mov_b32 s79, 0xbd92220c                                  // 000000002F48: BECF00FF BD92220C
	s_mov_b32 m0, s48                                          // 000000002F50: BEFC0030
	v_mov_b32_e32 v1, 0xbfcc4231                               // 000000002F54: 7E0202FF BFCC4231
	v_mov_b32_e32 v17, 0xffff0000                              // 000000002F5C: 7E2202FF FFFF0000
	v_mov_b32_e32 v18, 0x7fff0000                              // 000000002F64: 7E2402FF 7FFF0000
	v_mov_b32_e32 v19, 0x7fff                                  // 000000002F6C: 7E2602FF 00007FFF
	s_waitcnt vmcnt(0) expcnt(0) lgkmcnt(0)                    // 000000002F74: BF8C0000
	v_lshrrev_b32_e32 v4, 5, v0                                // 000000002F78: 20080085
	v_xor_b32_e32 v5, 1, v4                                    // 000000002F7C: 2A0A0881
	v_readlane_b32 s82, v3, 0                                  // 000000002F80: D2890052 00010103
	s_and_b32 s82, s82, 0xffffff                               // 000000002F88: 8652FF52 00FFFFFF
	v_mul_lo_u32 v6, v5, s82                                   // 000000002F90: D2850006 0000A505
	v_readlane_b32 s82, v3, 1                                  // 000000002F98: D2890052 00010303
	s_and_b32 s82, s82, 0xffffff                               // 000000002FA0: 8652FF52 00FFFFFF
	v_mul_lo_u32 v7, v4, s82                                   // 000000002FA8: D2850007 0000A504
	v_add_u32_e32 v35, v6, v7                                  // 000000002FB0: 68460F06
	v_mul_lo_u32 v35, v35, s68                                 // 000000002FB4: D2850023 00008923
	v_readlane_b32 s82, v3, 2                                  // 000000002FBC: D2890052 00010503
	s_and_b32 s82, s82, 0xffffff                               // 000000002FC4: 8652FF52 00FFFFFF
	v_mul_lo_u32 v6, v5, s82                                   // 000000002FCC: D2850006 0000A505
	v_readlane_b32 s82, v3, 3                                  // 000000002FD4: D2890052 00010703
	s_and_b32 s82, s82, 0xffffff                               // 000000002FDC: 8652FF52 00FFFFFF
	v_mul_lo_u32 v7, v4, s82                                   // 000000002FE4: D2850007 0000A504
	v_add_u32_e32 v36, v6, v7                                  // 000000002FEC: 68480F06
	v_mul_lo_u32 v36, v36, s68                                 // 000000002FF0: D2850024 00008924
	v_and_b32_e32 v4, 31, v0                                   // 000000002FF8: 2608009F
	v_lshlrev_b32_e32 v4, 2, v4                                // 000000002FFC: 24080882
	v_add_u32_e32 v35, v35, v4                                 // 000000003000: 68460923
	v_add_u32_e32 v36, v36, v4                                 // 000000003004: 68480924
	v_and_b32_e32 v31, 0xffffff, v31                           // 000000003008: 263E3EFF 00FFFFFF
	v_lshlrev_b32_e32 v31, 2, v31                              // 000000003010: 243E3E82
	s_lshl_b32 s3, s66, 2                                      // 000000003014: 8E038242
	buffer_load_dword v32, v31, s[28:31], 0 offen              // 000000003018: E0501000 8007201F
	buffer_load_dword v25, v22, s[32:35], 0 offen              // 000000003020: E0501000 80081916
	buffer_load_dword v26, v23, s[32:35], 0 offen              // 000000003028: E0501000 80081A17
	s_mul_i32 s60, 4, s65                                      // 000000003030: 923C4184
	s_add_u32 s32, s60, s32                                    // 000000003034: 8020203C
	s_addc_u32 s33, 0, s33                                     // 000000003038: 82212180
	buffer_load_dword v28, v22, s[32:35], 0 offen              // 00000000303C: E0501000 80081C16
	buffer_load_dword v29, v23, s[32:35], 0 offen              // 000000003044: E0501000 80081D17
	buffer_load_dword v35, s[20:23], 0 offen lds               // 00000000304C: E0511000 80050023
	s_add_u32 m0, 0x100, s48                                   // 000000003054: 807C30FF 00000100
	buffer_load_dword v36, s[20:23], 0 offen lds               // 00000000305C: E0511000 80050024
	s_add_u32 m0, 0, s49                                       // 000000003064: 807C3180
	s_add_u32 s20, s57, s20                                    // 000000003068: 80141439
	s_addc_u32 s21, 0, s21                                     // 00000000306C: 82151580
	buffer_load_dwordx4 a[16:19], v37, s[24:27], 0 offen       // 000000003070: E05C1000 80861025
	buffer_load_dwordx4 a[20:23], v37, s[24:27], 0 offen offset:1024// 000000003078: E05C1400 80861425
	buffer_load_dwordx4 a[24:27], v38, s[24:27], 0 offen       // 000000003080: E05C1000 80861826
	buffer_load_dwordx4 a[28:31], v38, s[24:27], 0 offen offset:1024// 000000003088: E05C1400 80861C26
	buffer_load_dwordx4 a[32:35], v39, s[24:27], 0 offen       // 000000003090: E05C1000 80862027
	buffer_load_dwordx4 a[36:39], v39, s[24:27], 0 offen offset:1024// 000000003098: E05C1400 80862427
	buffer_load_dwordx4 a[40:43], v40, s[24:27], 0 offen       // 0000000030A0: E05C1000 80862828
	buffer_load_dwordx4 a[44:47], v40, s[24:27], 0 offen offset:1024// 0000000030A8: E05C1400 80862C28
	buffer_load_dwordx4 a[48:51], v41, s[24:27], 0 offen       // 0000000030B0: E05C1000 80863029
	buffer_load_dwordx4 a[52:55], v41, s[24:27], 0 offen offset:1024// 0000000030B8: E05C1400 80863429
	buffer_load_dwordx4 a[56:59], v42, s[24:27], 0 offen       // 0000000030C0: E05C1000 8086382A
	buffer_load_dwordx4 a[60:63], v42, s[24:27], 0 offen offset:1024// 0000000030C8: E05C1400 80863C2A
	buffer_load_dwordx4 a[64:67], v43, s[24:27], 0 offen       // 0000000030D0: E05C1000 8086402B
	buffer_load_dwordx4 a[68:71], v43, s[24:27], 0 offen offset:1024// 0000000030D8: E05C1400 8086442B
	buffer_load_dwordx4 a[72:75], v44, s[24:27], 0 offen       // 0000000030E0: E05C1000 8086482C
	buffer_load_dwordx4 a[76:79], v44, s[24:27], 0 offen offset:1024// 0000000030E8: E05C1400 80864C2C
	s_add_u32 s24, s58, s24                                    // 0000000030F0: 8018183A
	s_addc_u32 s25, 0, s25                                     // 0000000030F4: 82191980
	buffer_load_dword v35, s[20:23], 0 offen lds               // 0000000030F8: E0511000 80050023
	s_add_u32 m0, 0x100, s49                                   // 000000003100: 807C31FF 00000100
	buffer_load_dword v36, s[20:23], 0 offen lds               // 000000003108: E0511000 80050024
	s_add_u32 m0, 0, s50                                       // 000000003110: 807C3280
	s_add_u32 s20, s57, s20                                    // 000000003114: 80141439
	s_addc_u32 s21, 0, s21                                     // 000000003118: 82151580
	buffer_load_dwordx4 a[80:83], v37, s[84:87], 0 offen       // 00000000311C: E05C1000 80955025
	buffer_load_dwordx4 a[84:87], v37, s[84:87], 0 offen offset:1024// 000000003124: E05C1400 80955425
	buffer_load_dwordx4 a[88:91], v38, s[84:87], 0 offen       // 00000000312C: E05C1000 80955826
	buffer_load_dwordx4 a[92:95], v38, s[84:87], 0 offen offset:1024// 000000003134: E05C1400 80955C26
	buffer_load_dwordx4 a[96:99], v39, s[84:87], 0 offen       // 00000000313C: E05C1000 80956027
	buffer_load_dwordx4 a[100:103], v39, s[84:87], 0 offen offset:1024// 000000003144: E05C1400 80956427
	buffer_load_dwordx4 a[104:107], v40, s[84:87], 0 offen     // 00000000314C: E05C1000 80956828
	buffer_load_dwordx4 a[108:111], v40, s[84:87], 0 offen offset:1024// 000000003154: E05C1400 80956C28
	buffer_load_dwordx4 a[112:115], v41, s[84:87], 0 offen     // 00000000315C: E05C1000 80957029
	buffer_load_dwordx4 a[116:119], v41, s[84:87], 0 offen offset:1024// 000000003164: E05C1400 80957429
	buffer_load_dwordx4 a[120:123], v42, s[84:87], 0 offen     // 00000000316C: E05C1000 8095782A
	buffer_load_dwordx4 a[124:127], v42, s[84:87], 0 offen offset:1024// 000000003174: E05C1400 80957C2A
	buffer_load_dwordx4 a[128:131], v43, s[84:87], 0 offen     // 00000000317C: E05C1000 8095802B
	buffer_load_dwordx4 a[132:135], v43, s[84:87], 0 offen offset:1024// 000000003184: E05C1400 8095842B
	buffer_load_dwordx4 a[136:139], v44, s[84:87], 0 offen     // 00000000318C: E05C1000 8095882C
	buffer_load_dwordx4 a[140:143], v44, s[84:87], 0 offen offset:1024// 000000003194: E05C1400 80958C2C
	s_add_u32 s84, s83, s84                                    // 00000000319C: 80545453
	s_addc_u32 s85, 0, s85                                     // 0000000031A0: 82555580
	s_waitcnt vmcnt(34)                                        // 0000000031A4: BF8C8F72
	s_barrier                                                  // 0000000031A8: BF8A0000
	ds_read_b128 a[0:3], v2                                    // 0000000031AC: DBFE0000 00000002
	ds_read_b128 a[4:7], v2 offset:64                          // 0000000031B4: DBFE0040 04000002
	s_cmp_lt_i32 s7, 2                                         // 0000000031BC: BF048207
	s_cbranch_scc0 label_0DFE                                  // 0000000031C0: BF840C0A

00000000000031c4 <label_01F1>:
	s_waitcnt vmcnt(18) lgkmcnt(0)                             // 0000000031C4: BF8C4072
	v_mfma_f32_16x16x32_fp8_fp8 v[48:51], a[16:17], a[0:1], v[48:51]// 0000000031C8: D3F30030 1CC20110
	v_mfma_f32_16x16x32_fp8_fp8 v[48:51], a[18:19], a[2:3], v[48:51]// 0000000031D0: D3F30030 1CC20512
	buffer_load_dwordx4 a[144:147], v37, s[24:27], 0 offen     // 0000000031D8: E05C1000 80869025
	v_mfma_f32_16x16x32_fp8_fp8 v[48:51], a[20:21], a[4:5], v[48:51]// 0000000031E0: D3F30030 1CC20914
	v_mfma_f32_16x16x32_fp8_fp8 v[48:51], a[22:23], a[6:7], v[48:51]// 0000000031E8: D3F30030 1CC20D16
	v_mfma_f32_16x16x32_fp8_fp8 v[52:55], a[24:25], a[0:1], v[52:55]// 0000000031F0: D3F30034 1CD20118
	v_mfma_f32_16x16x32_fp8_fp8 v[52:55], a[26:27], a[2:3], v[52:55]// 0000000031F8: D3F30034 1CD2051A
	buffer_load_dwordx4 a[148:151], v37, s[24:27], 0 offen offset:1024// 000000003200: E05C1400 80869425
	v_mfma_f32_16x16x32_fp8_fp8 v[52:55], a[28:29], a[4:5], v[52:55]// 000000003208: D3F30034 1CD2091C
	v_mfma_f32_16x16x32_fp8_fp8 v[52:55], a[30:31], a[6:7], v[52:55]// 000000003210: D3F30034 1CD20D1E
	v_mfma_f32_16x16x32_fp8_fp8 v[56:59], a[32:33], a[0:1], v[56:59]// 000000003218: D3F30038 1CE20120
	v_mfma_f32_16x16x32_fp8_fp8 v[56:59], a[34:35], a[2:3], v[56:59]// 000000003220: D3F30038 1CE20522
	buffer_load_dwordx4 a[152:155], v38, s[24:27], 0 offen     // 000000003228: E05C1000 80869826
	v_mfma_f32_16x16x32_fp8_fp8 v[56:59], a[36:37], a[4:5], v[56:59]// 000000003230: D3F30038 1CE20924
	v_mfma_f32_16x16x32_fp8_fp8 v[56:59], a[38:39], a[6:7], v[56:59]// 000000003238: D3F30038 1CE20D26
	v_mfma_f32_16x16x32_fp8_fp8 v[60:63], a[40:41], a[0:1], v[60:63]// 000000003240: D3F3003C 1CF20128
	v_mfma_f32_16x16x32_fp8_fp8 v[60:63], a[42:43], a[2:3], v[60:63]// 000000003248: D3F3003C 1CF2052A
	buffer_load_dwordx4 a[156:159], v38, s[24:27], 0 offen offset:1024// 000000003250: E05C1400 80869C26
	v_mfma_f32_16x16x32_fp8_fp8 v[60:63], a[44:45], a[4:5], v[60:63]// 000000003258: D3F3003C 1CF2092C
	v_mfma_f32_16x16x32_fp8_fp8 v[60:63], a[46:47], a[6:7], v[60:63]// 000000003260: D3F3003C 1CF20D2E
	v_mfma_f32_16x16x32_fp8_fp8 v[64:67], a[48:49], a[0:1], v[64:67]// 000000003268: D3F30040 1D020130
	v_mfma_f32_16x16x32_fp8_fp8 v[64:67], a[50:51], a[2:3], v[64:67]// 000000003270: D3F30040 1D020532
	buffer_load_dwordx4 a[160:163], v39, s[24:27], 0 offen     // 000000003278: E05C1000 8086A027
	v_mfma_f32_16x16x32_fp8_fp8 v[64:67], a[52:53], a[4:5], v[64:67]// 000000003280: D3F30040 1D020934
	v_mfma_f32_16x16x32_fp8_fp8 v[64:67], a[54:55], a[6:7], v[64:67]// 000000003288: D3F30040 1D020D36
	v_mfma_f32_16x16x32_fp8_fp8 v[68:71], a[56:57], a[0:1], v[68:71]// 000000003290: D3F30044 1D120138
	v_mfma_f32_16x16x32_fp8_fp8 v[68:71], a[58:59], a[2:3], v[68:71]// 000000003298: D3F30044 1D12053A
	buffer_load_dwordx4 a[164:167], v39, s[24:27], 0 offen offset:1024// 0000000032A0: E05C1400 8086A427
	v_mfma_f32_16x16x32_fp8_fp8 v[68:71], a[60:61], a[4:5], v[68:71]// 0000000032A8: D3F30044 1D12093C
	v_mfma_f32_16x16x32_fp8_fp8 v[68:71], a[62:63], a[6:7], v[68:71]// 0000000032B0: D3F30044 1D120D3E
	v_mfma_f32_16x16x32_fp8_fp8 v[72:75], a[64:65], a[0:1], v[72:75]// 0000000032B8: D3F30048 1D220140
	v_mfma_f32_16x16x32_fp8_fp8 v[72:75], a[66:67], a[2:3], v[72:75]// 0000000032C0: D3F30048 1D220542
	buffer_load_dwordx4 a[168:171], v40, s[24:27], 0 offen     // 0000000032C8: E05C1000 8086A828
	v_mfma_f32_16x16x32_fp8_fp8 v[72:75], a[68:69], a[4:5], v[72:75]// 0000000032D0: D3F30048 1D220944
	v_mfma_f32_16x16x32_fp8_fp8 v[72:75], a[70:71], a[6:7], v[72:75]// 0000000032D8: D3F30048 1D220D46
	v_mfma_f32_16x16x32_fp8_fp8 v[76:79], a[72:73], a[0:1], v[76:79]// 0000000032E0: D3F3004C 1D320148
	v_mfma_f32_16x16x32_fp8_fp8 v[76:79], a[74:75], a[2:3], v[76:79]// 0000000032E8: D3F3004C 1D32054A
	buffer_load_dwordx4 a[172:175], v40, s[24:27], 0 offen offset:1024// 0000000032F0: E05C1400 8086AC28
	v_mfma_f32_16x16x32_fp8_fp8 v[76:79], a[76:77], a[4:5], v[76:79]// 0000000032F8: D3F3004C 1D32094C
	v_mfma_f32_16x16x32_fp8_fp8 v[76:79], a[78:79], a[6:7], v[76:79]// 000000003300: D3F3004C 1D320D4E
	buffer_load_dwordx4 a[176:179], v41, s[24:27], 0 offen     // 000000003308: E05C1000 8086B029
	buffer_load_dwordx4 a[180:183], v41, s[24:27], 0 offen offset:1024// 000000003310: E05C1400 8086B429
	buffer_load_dwordx4 a[184:187], v42, s[24:27], 0 offen     // 000000003318: E05C1000 8086B82A
	buffer_load_dwordx4 a[188:191], v42, s[24:27], 0 offen offset:1024// 000000003320: E05C1400 8086BC2A
	buffer_load_dwordx4 a[192:195], v43, s[24:27], 0 offen     // 000000003328: E05C1000 8086C02B
	buffer_load_dwordx4 a[196:199], v43, s[24:27], 0 offen offset:1024// 000000003330: E05C1400 8086C42B
	buffer_load_dwordx4 a[200:203], v44, s[24:27], 0 offen     // 000000003338: E05C1000 8086C82C
	buffer_load_dwordx4 a[204:207], v44, s[24:27], 0 offen offset:1024// 000000003340: E05C1400 8086CC2C
	buffer_load_dword v35, s[20:23], 0 offen lds               // 000000003348: E0511000 80050023
	s_add_u32 m0, 0x100, s50                                   // 000000003350: 807C32FF 00000100
	buffer_load_dword v36, s[20:23], 0 offen lds               // 000000003358: E0511000 80050024
	s_add_u32 m0, 0, s48                                       // 000000003360: 807C3080
	s_waitcnt vmcnt(18)                                        // 000000003364: BF8C4F72
	s_barrier                                                  // 000000003368: BF8A0000
	v_mfma_f32_16x16x32_fp8_fp8 v[80:83], a[80:81], a[0:1], v[80:83]// 00000000336C: D3F30050 1D420150
	v_mfma_f32_16x16x32_fp8_fp8 v[80:83], a[82:83], a[2:3], v[80:83]// 000000003374: D3F30050 1D420552
	buffer_load_dwordx4 a[16:19], v37, s[84:87], 0 offen       // 00000000337C: E05C1000 80951025
	v_mfma_f32_16x16x32_fp8_fp8 v[80:83], a[84:85], a[4:5], v[80:83]// 000000003384: D3F30050 1D420954
	v_mfma_f32_16x16x32_fp8_fp8 v[80:83], a[86:87], a[6:7], v[80:83]// 00000000338C: D3F30050 1D420D56
	ds_read_b128 a[8:11], v2 offset:2176                       // 000000003394: DBFE0880 08000002
	ds_read_b128 a[12:15], v2 offset:2240                      // 00000000339C: DBFE08C0 0C000002
	v_mfma_f32_16x16x32_fp8_fp8 v[84:87], a[88:89], a[0:1], v[84:87]// 0000000033A4: D3F30054 1D520158
	v_mfma_f32_16x16x32_fp8_fp8 v[84:87], a[90:91], a[2:3], v[84:87]// 0000000033AC: D3F30054 1D52055A
	buffer_load_dwordx4 a[20:23], v37, s[84:87], 0 offen offset:1024// 0000000033B4: E05C1400 80951425
	v_mfma_f32_16x16x32_fp8_fp8 v[84:87], a[92:93], a[4:5], v[84:87]// 0000000033BC: D3F30054 1D52095C
	v_mfma_f32_16x16x32_fp8_fp8 v[84:87], a[94:95], a[6:7], v[84:87]// 0000000033C4: D3F30054 1D520D5E
	v_mfma_f32_16x16x32_fp8_fp8 v[88:91], a[96:97], a[0:1], v[88:91]// 0000000033CC: D3F30058 1D620160
	v_mfma_f32_16x16x32_fp8_fp8 v[88:91], a[98:99], a[2:3], v[88:91]// 0000000033D4: D3F30058 1D620562
	buffer_load_dwordx4 a[24:27], v38, s[84:87], 0 offen       // 0000000033DC: E05C1000 80951826
	v_mfma_f32_16x16x32_fp8_fp8 v[88:91], a[100:101], a[4:5], v[88:91]// 0000000033E4: D3F30058 1D620964
	v_mfma_f32_16x16x32_fp8_fp8 v[88:91], a[102:103], a[6:7], v[88:91]// 0000000033EC: D3F30058 1D620D66
	v_mfma_f32_16x16x32_fp8_fp8 v[92:95], a[104:105], a[0:1], v[92:95]// 0000000033F4: D3F3005C 1D720168
	v_mfma_f32_16x16x32_fp8_fp8 v[92:95], a[106:107], a[2:3], v[92:95]// 0000000033FC: D3F3005C 1D72056A
	buffer_load_dwordx4 a[28:31], v38, s[84:87], 0 offen offset:1024// 000000003404: E05C1400 80951C26
	v_mfma_f32_16x16x32_fp8_fp8 v[92:95], a[108:109], a[4:5], v[92:95]// 00000000340C: D3F3005C 1D72096C
	v_mfma_f32_16x16x32_fp8_fp8 v[92:95], a[110:111], a[6:7], v[92:95]// 000000003414: D3F3005C 1D720D6E
	v_mfma_f32_16x16x32_fp8_fp8 v[96:99], a[112:113], a[0:1], v[96:99]// 00000000341C: D3F30060 1D820170
	v_mfma_f32_16x16x32_fp8_fp8 v[96:99], a[114:115], a[2:3], v[96:99]// 000000003424: D3F30060 1D820572
	buffer_load_dwordx4 a[32:35], v39, s[84:87], 0 offen       // 00000000342C: E05C1000 80952027
	v_mfma_f32_16x16x32_fp8_fp8 v[96:99], a[116:117], a[4:5], v[96:99]// 000000003434: D3F30060 1D820974
	v_mfma_f32_16x16x32_fp8_fp8 v[96:99], a[118:119], a[6:7], v[96:99]// 00000000343C: D3F30060 1D820D76
	v_mfma_f32_16x16x32_fp8_fp8 v[100:103], a[120:121], a[0:1], v[100:103]// 000000003444: D3F30064 1D920178
	v_mfma_f32_16x16x32_fp8_fp8 v[100:103], a[122:123], a[2:3], v[100:103]// 00000000344C: D3F30064 1D92057A
	buffer_load_dwordx4 a[36:39], v39, s[84:87], 0 offen offset:1024// 000000003454: E05C1400 80952427
	v_mfma_f32_16x16x32_fp8_fp8 v[100:103], a[124:125], a[4:5], v[100:103]// 00000000345C: D3F30064 1D92097C
	v_mfma_f32_16x16x32_fp8_fp8 v[100:103], a[126:127], a[6:7], v[100:103]// 000000003464: D3F30064 1D920D7E
	v_mfma_f32_16x16x32_fp8_fp8 v[104:107], a[128:129], a[0:1], v[104:107]// 00000000346C: D3F30068 1DA20180
	s_add_u32 s60, 0x180, s80                                  // 000000003474: 803C50FF 00000180
	s_cmp_lt_u32 s60, s81                                      // 00000000347C: BF0A513C
	s_cselect_b32 s57, s57, 0                                  // 000000003480: 85398039
	v_mfma_f32_16x16x32_fp8_fp8 v[104:107], a[130:131], a[2:3], v[104:107]// 000000003484: D3F30068 1DA20582
	buffer_load_dwordx4 a[40:43], v40, s[84:87], 0 offen       // 00000000348C: E05C1000 80952828
	s_add_u32 s60, 0x100, s80                                  // 000000003494: 803C50FF 00000100
	s_cmp_lt_u32 s60, s81                                      // 00000000349C: BF0A513C
	s_cselect_b32 s58, s58, 0                                  // 0000000034A0: 853A803A
	v_mfma_f32_16x16x32_fp8_fp8 v[104:107], a[132:133], a[4:5], v[104:107]// 0000000034A4: D3F30068 1DA20984
	s_add_u32 s60, 0x100, s80                                  // 0000000034AC: 803C50FF 00000100
	s_cmp_lt_u32 s60, s81                                      // 0000000034B4: BF0A513C
	s_cselect_b32 s83, s83, 0                                  // 0000000034B8: 85538053
	v_mfma_f32_16x16x32_fp8_fp8 v[104:107], a[134:135], a[6:7], v[104:107]// 0000000034BC: D3F30068 1DA20D86
	s_add_u32 s24, s58, s24                                    // 0000000034C4: 8018183A
	s_addc_u32 s25, 0, s25                                     // 0000000034C8: 82191980
	v_mfma_f32_16x16x32_fp8_fp8 v[108:111], a[136:137], a[0:1], v[108:111]// 0000000034CC: D3F3006C 1DB20188
	s_add_u32 s20, s57, s20                                    // 0000000034D4: 80141439
	s_addc_u32 s21, 0, s21                                     // 0000000034D8: 82151580
	v_mfma_f32_16x16x32_fp8_fp8 v[108:111], a[138:139], a[2:3], v[108:111]// 0000000034DC: D3F3006C 1DB2058A
	buffer_load_dwordx4 a[44:47], v40, s[84:87], 0 offen offset:1024// 0000000034E4: E05C1400 80952C28
	v_mfma_f32_16x16x32_fp8_fp8 v[108:111], a[140:141], a[4:5], v[108:111]// 0000000034EC: D3F3006C 1DB2098C
	v_mfma_f32_16x16x32_fp8_fp8 v[108:111], a[142:143], a[6:7], v[108:111]// 0000000034F4: D3F3006C 1DB20D8E
	buffer_load_dwordx4 a[48:51], v41, s[84:87], 0 offen       // 0000000034FC: E05C1000 80953029
	buffer_load_dwordx4 a[52:55], v41, s[84:87], 0 offen offset:1024// 000000003504: E05C1400 80953429
	buffer_load_dwordx4 a[56:59], v42, s[84:87], 0 offen       // 00000000350C: E05C1000 8095382A
	buffer_load_dwordx4 a[60:63], v42, s[84:87], 0 offen offset:1024// 000000003514: E05C1400 80953C2A
	buffer_load_dwordx4 a[64:67], v43, s[84:87], 0 offen       // 00000000351C: E05C1000 8095402B
	buffer_load_dwordx4 a[68:71], v43, s[84:87], 0 offen offset:1024// 000000003524: E05C1400 8095442B
	buffer_load_dwordx4 a[72:75], v44, s[84:87], 0 offen       // 00000000352C: E05C1000 8095482C
	buffer_load_dwordx4 a[76:79], v44, s[84:87], 0 offen offset:1024// 000000003534: E05C1400 80954C2C
	s_add_u32 s84, s83, s84                                    // 00000000353C: 80545453
	s_addc_u32 s85, 0, s85                                     // 000000003540: 82555580
	s_addk_i32 s80, 0x80                                       // 000000003544: B7500080
	s_cmp_lt_i32 s80, s81                                      // 000000003548: BF045150
	s_cbranch_scc0 label_0744                                  // 00000000354C: BF840470
	s_waitcnt vmcnt(18) lgkmcnt(0)                             // 000000003550: BF8C4072
	v_mfma_f32_16x16x32_fp8_fp8 v[48:51], a[144:145], a[8:9], v[48:51]// 000000003554: D3F30030 1CC21190
	v_mfma_f32_16x16x32_fp8_fp8 v[48:51], a[146:147], a[10:11], v[48:51]// 00000000355C: D3F30030 1CC21592
	buffer_load_dwordx4 a[80:83], v37, s[24:27], 0 offen       // 000000003564: E05C1000 80865025
	v_mfma_f32_16x16x32_fp8_fp8 v[48:51], a[148:149], a[12:13], v[48:51]// 00000000356C: D3F30030 1CC21994
	v_mfma_f32_16x16x32_fp8_fp8 v[48:51], a[150:151], a[14:15], v[48:51]// 000000003574: D3F30030 1CC21D96
	v_mfma_f32_16x16x32_fp8_fp8 v[52:55], a[152:153], a[8:9], v[52:55]// 00000000357C: D3F30034 1CD21198
	v_mfma_f32_16x16x32_fp8_fp8 v[52:55], a[154:155], a[10:11], v[52:55]// 000000003584: D3F30034 1CD2159A
	buffer_load_dwordx4 a[84:87], v37, s[24:27], 0 offen offset:1024// 00000000358C: E05C1400 80865425
	v_mfma_f32_16x16x32_fp8_fp8 v[52:55], a[156:157], a[12:13], v[52:55]// 000000003594: D3F30034 1CD2199C
	v_mfma_f32_16x16x32_fp8_fp8 v[52:55], a[158:159], a[14:15], v[52:55]// 00000000359C: D3F30034 1CD21D9E
	v_mfma_f32_16x16x32_fp8_fp8 v[56:59], a[160:161], a[8:9], v[56:59]// 0000000035A4: D3F30038 1CE211A0
	v_mfma_f32_16x16x32_fp8_fp8 v[56:59], a[162:163], a[10:11], v[56:59]// 0000000035AC: D3F30038 1CE215A2
	buffer_load_dwordx4 a[88:91], v38, s[24:27], 0 offen       // 0000000035B4: E05C1000 80865826
	v_mfma_f32_16x16x32_fp8_fp8 v[56:59], a[164:165], a[12:13], v[56:59]// 0000000035BC: D3F30038 1CE219A4
	v_mfma_f32_16x16x32_fp8_fp8 v[56:59], a[166:167], a[14:15], v[56:59]// 0000000035C4: D3F30038 1CE21DA6
	v_mfma_f32_16x16x32_fp8_fp8 v[60:63], a[168:169], a[8:9], v[60:63]// 0000000035CC: D3F3003C 1CF211A8
	v_mfma_f32_16x16x32_fp8_fp8 v[60:63], a[170:171], a[10:11], v[60:63]// 0000000035D4: D3F3003C 1CF215AA
	buffer_load_dwordx4 a[92:95], v38, s[24:27], 0 offen offset:1024// 0000000035DC: E05C1400 80865C26
	v_mfma_f32_16x16x32_fp8_fp8 v[60:63], a[172:173], a[12:13], v[60:63]// 0000000035E4: D3F3003C 1CF219AC
	v_mfma_f32_16x16x32_fp8_fp8 v[60:63], a[174:175], a[14:15], v[60:63]// 0000000035EC: D3F3003C 1CF21DAE
	v_mfma_f32_16x16x32_fp8_fp8 v[64:67], a[176:177], a[8:9], v[64:67]// 0000000035F4: D3F30040 1D0211B0
	v_mfma_f32_16x16x32_fp8_fp8 v[64:67], a[178:179], a[10:11], v[64:67]// 0000000035FC: D3F30040 1D0215B2
	buffer_load_dwordx4 a[96:99], v39, s[24:27], 0 offen       // 000000003604: E05C1000 80866027
	v_mfma_f32_16x16x32_fp8_fp8 v[64:67], a[180:181], a[12:13], v[64:67]// 00000000360C: D3F30040 1D0219B4
	v_mfma_f32_16x16x32_fp8_fp8 v[64:67], a[182:183], a[14:15], v[64:67]// 000000003614: D3F30040 1D021DB6
	v_mfma_f32_16x16x32_fp8_fp8 v[68:71], a[184:185], a[8:9], v[68:71]// 00000000361C: D3F30044 1D1211B8
	v_mfma_f32_16x16x32_fp8_fp8 v[68:71], a[186:187], a[10:11], v[68:71]// 000000003624: D3F30044 1D1215BA
	buffer_load_dwordx4 a[100:103], v39, s[24:27], 0 offen offset:1024// 00000000362C: E05C1400 80866427
	v_mfma_f32_16x16x32_fp8_fp8 v[68:71], a[188:189], a[12:13], v[68:71]// 000000003634: D3F30044 1D1219BC
	v_mfma_f32_16x16x32_fp8_fp8 v[68:71], a[190:191], a[14:15], v[68:71]// 00000000363C: D3F30044 1D121DBE
	v_mfma_f32_16x16x32_fp8_fp8 v[72:75], a[192:193], a[8:9], v[72:75]// 000000003644: D3F30048 1D2211C0
	v_mfma_f32_16x16x32_fp8_fp8 v[72:75], a[194:195], a[10:11], v[72:75]// 00000000364C: D3F30048 1D2215C2
	buffer_load_dwordx4 a[104:107], v40, s[24:27], 0 offen     // 000000003654: E05C1000 80866828
	v_mfma_f32_16x16x32_fp8_fp8 v[72:75], a[196:197], a[12:13], v[72:75]// 00000000365C: D3F30048 1D2219C4
	v_mfma_f32_16x16x32_fp8_fp8 v[72:75], a[198:199], a[14:15], v[72:75]// 000000003664: D3F30048 1D221DC6
	v_mfma_f32_16x16x32_fp8_fp8 v[76:79], a[200:201], a[8:9], v[76:79]// 00000000366C: D3F3004C 1D3211C8
	v_mfma_f32_16x16x32_fp8_fp8 v[76:79], a[202:203], a[10:11], v[76:79]// 000000003674: D3F3004C 1D3215CA
	buffer_load_dwordx4 a[108:111], v40, s[24:27], 0 offen offset:1024// 00000000367C: E05C1400 80866C28
	v_mfma_f32_16x16x32_fp8_fp8 v[76:79], a[204:205], a[12:13], v[76:79]// 000000003684: D3F3004C 1D3219CC
	v_mfma_f32_16x16x32_fp8_fp8 v[76:79], a[206:207], a[14:15], v[76:79]// 00000000368C: D3F3004C 1D321DCE
	buffer_load_dwordx4 a[112:115], v41, s[24:27], 0 offen     // 000000003694: E05C1000 80867029
	buffer_load_dwordx4 a[116:119], v41, s[24:27], 0 offen offset:1024// 00000000369C: E05C1400 80867429
	buffer_load_dwordx4 a[120:123], v42, s[24:27], 0 offen     // 0000000036A4: E05C1000 8086782A
	buffer_load_dwordx4 a[124:127], v42, s[24:27], 0 offen offset:1024// 0000000036AC: E05C1400 80867C2A
	buffer_load_dwordx4 a[128:131], v43, s[24:27], 0 offen     // 0000000036B4: E05C1000 8086802B
	buffer_load_dwordx4 a[132:135], v43, s[24:27], 0 offen offset:1024// 0000000036BC: E05C1400 8086842B
	buffer_load_dwordx4 a[136:139], v44, s[24:27], 0 offen     // 0000000036C4: E05C1000 8086882C
	buffer_load_dwordx4 a[140:143], v44, s[24:27], 0 offen offset:1024// 0000000036CC: E05C1400 80868C2C
	buffer_load_dword v35, s[20:23], 0 offen lds               // 0000000036D4: E0511000 80050023
	s_add_u32 m0, 0x100, s48                                   // 0000000036DC: 807C30FF 00000100
	buffer_load_dword v36, s[20:23], 0 offen lds               // 0000000036E4: E0511000 80050024
	s_add_u32 m0, 0, s49                                       // 0000000036EC: 807C3180
	s_waitcnt vmcnt(18)                                        // 0000000036F0: BF8C4F72
	s_barrier                                                  // 0000000036F4: BF8A0000
	v_mfma_f32_16x16x32_fp8_fp8 v[80:83], a[16:17], a[8:9], v[80:83]// 0000000036F8: D3F30050 1D421110
	v_mfma_f32_16x16x32_fp8_fp8 v[80:83], a[18:19], a[10:11], v[80:83]// 000000003700: D3F30050 1D421512
	buffer_load_dwordx4 a[144:147], v37, s[84:87], 0 offen     // 000000003708: E05C1000 80959025
	v_mfma_f32_16x16x32_fp8_fp8 v[80:83], a[20:21], a[12:13], v[80:83]// 000000003710: D3F30050 1D421914
	v_mfma_f32_16x16x32_fp8_fp8 v[80:83], a[22:23], a[14:15], v[80:83]// 000000003718: D3F30050 1D421D16
	ds_read_b128 a[0:3], v2 offset:4352                        // 000000003720: DBFE1100 00000002
	ds_read_b128 a[4:7], v2 offset:4416                        // 000000003728: DBFE1140 04000002
	v_mfma_f32_16x16x32_fp8_fp8 v[84:87], a[24:25], a[8:9], v[84:87]// 000000003730: D3F30054 1D521118
	v_mfma_f32_16x16x32_fp8_fp8 v[84:87], a[26:27], a[10:11], v[84:87]// 000000003738: D3F30054 1D52151A
	buffer_load_dwordx4 a[148:151], v37, s[84:87], 0 offen offset:1024// 000000003740: E05C1400 80959425
	v_mfma_f32_16x16x32_fp8_fp8 v[84:87], a[28:29], a[12:13], v[84:87]// 000000003748: D3F30054 1D52191C
	v_mfma_f32_16x16x32_fp8_fp8 v[84:87], a[30:31], a[14:15], v[84:87]// 000000003750: D3F30054 1D521D1E
	v_mfma_f32_16x16x32_fp8_fp8 v[88:91], a[32:33], a[8:9], v[88:91]// 000000003758: D3F30058 1D621120
	v_mfma_f32_16x16x32_fp8_fp8 v[88:91], a[34:35], a[10:11], v[88:91]// 000000003760: D3F30058 1D621522
	buffer_load_dwordx4 a[152:155], v38, s[84:87], 0 offen     // 000000003768: E05C1000 80959826
	v_mfma_f32_16x16x32_fp8_fp8 v[88:91], a[36:37], a[12:13], v[88:91]// 000000003770: D3F30058 1D621924
	v_mfma_f32_16x16x32_fp8_fp8 v[88:91], a[38:39], a[14:15], v[88:91]// 000000003778: D3F30058 1D621D26
	v_mfma_f32_16x16x32_fp8_fp8 v[92:95], a[40:41], a[8:9], v[92:95]// 000000003780: D3F3005C 1D721128
	v_mfma_f32_16x16x32_fp8_fp8 v[92:95], a[42:43], a[10:11], v[92:95]// 000000003788: D3F3005C 1D72152A
	buffer_load_dwordx4 a[156:159], v38, s[84:87], 0 offen offset:1024// 000000003790: E05C1400 80959C26
	v_mfma_f32_16x16x32_fp8_fp8 v[92:95], a[44:45], a[12:13], v[92:95]// 000000003798: D3F3005C 1D72192C
	v_mfma_f32_16x16x32_fp8_fp8 v[92:95], a[46:47], a[14:15], v[92:95]// 0000000037A0: D3F3005C 1D721D2E
	v_mfma_f32_16x16x32_fp8_fp8 v[96:99], a[48:49], a[8:9], v[96:99]// 0000000037A8: D3F30060 1D821130
	v_mfma_f32_16x16x32_fp8_fp8 v[96:99], a[50:51], a[10:11], v[96:99]// 0000000037B0: D3F30060 1D821532
	buffer_load_dwordx4 a[160:163], v39, s[84:87], 0 offen     // 0000000037B8: E05C1000 8095A027
	v_mfma_f32_16x16x32_fp8_fp8 v[96:99], a[52:53], a[12:13], v[96:99]// 0000000037C0: D3F30060 1D821934
	v_mfma_f32_16x16x32_fp8_fp8 v[96:99], a[54:55], a[14:15], v[96:99]// 0000000037C8: D3F30060 1D821D36
	v_mfma_f32_16x16x32_fp8_fp8 v[100:103], a[56:57], a[8:9], v[100:103]// 0000000037D0: D3F30064 1D921138
	v_mfma_f32_16x16x32_fp8_fp8 v[100:103], a[58:59], a[10:11], v[100:103]// 0000000037D8: D3F30064 1D92153A
	buffer_load_dwordx4 a[164:167], v39, s[84:87], 0 offen offset:1024// 0000000037E0: E05C1400 8095A427
	v_mfma_f32_16x16x32_fp8_fp8 v[100:103], a[60:61], a[12:13], v[100:103]// 0000000037E8: D3F30064 1D92193C
	v_mfma_f32_16x16x32_fp8_fp8 v[100:103], a[62:63], a[14:15], v[100:103]// 0000000037F0: D3F30064 1D921D3E
	v_mfma_f32_16x16x32_fp8_fp8 v[104:107], a[64:65], a[8:9], v[104:107]// 0000000037F8: D3F30068 1DA21140
	s_add_u32 s60, 0x180, s80                                  // 000000003800: 803C50FF 00000180
	s_cmp_lt_u32 s60, s81                                      // 000000003808: BF0A513C
	s_cselect_b32 s57, s57, 0                                  // 00000000380C: 85398039
	v_mfma_f32_16x16x32_fp8_fp8 v[104:107], a[66:67], a[10:11], v[104:107]// 000000003810: D3F30068 1DA21542
	buffer_load_dwordx4 a[168:171], v40, s[84:87], 0 offen     // 000000003818: E05C1000 8095A828
	s_add_u32 s60, 0x100, s80                                  // 000000003820: 803C50FF 00000100
	s_cmp_lt_u32 s60, s81                                      // 000000003828: BF0A513C
	s_cselect_b32 s58, s58, 0                                  // 00000000382C: 853A803A
	v_mfma_f32_16x16x32_fp8_fp8 v[104:107], a[68:69], a[12:13], v[104:107]// 000000003830: D3F30068 1DA21944
	s_add_u32 s60, 0x100, s80                                  // 000000003838: 803C50FF 00000100
	s_cmp_lt_u32 s60, s81                                      // 000000003840: BF0A513C
	s_cselect_b32 s83, s83, 0                                  // 000000003844: 85538053
	v_mfma_f32_16x16x32_fp8_fp8 v[104:107], a[70:71], a[14:15], v[104:107]// 000000003848: D3F30068 1DA21D46
	s_add_u32 s24, s58, s24                                    // 000000003850: 8018183A
	s_addc_u32 s25, 0, s25                                     // 000000003854: 82191980
	v_mfma_f32_16x16x32_fp8_fp8 v[108:111], a[72:73], a[8:9], v[108:111]// 000000003858: D3F3006C 1DB21148
	s_add_u32 s20, s57, s20                                    // 000000003860: 80141439
	s_addc_u32 s21, 0, s21                                     // 000000003864: 82151580
	v_mfma_f32_16x16x32_fp8_fp8 v[108:111], a[74:75], a[10:11], v[108:111]// 000000003868: D3F3006C 1DB2154A
	buffer_load_dwordx4 a[172:175], v40, s[84:87], 0 offen offset:1024// 000000003870: E05C1400 8095AC28
	v_mfma_f32_16x16x32_fp8_fp8 v[108:111], a[76:77], a[12:13], v[108:111]// 000000003878: D3F3006C 1DB2194C
	v_mfma_f32_16x16x32_fp8_fp8 v[108:111], a[78:79], a[14:15], v[108:111]// 000000003880: D3F3006C 1DB21D4E
	buffer_load_dwordx4 a[176:179], v41, s[84:87], 0 offen     // 000000003888: E05C1000 8095B029
	buffer_load_dwordx4 a[180:183], v41, s[84:87], 0 offen offset:1024// 000000003890: E05C1400 8095B429
	buffer_load_dwordx4 a[184:187], v42, s[84:87], 0 offen     // 000000003898: E05C1000 8095B82A
	buffer_load_dwordx4 a[188:191], v42, s[84:87], 0 offen offset:1024// 0000000038A0: E05C1400 8095BC2A
	buffer_load_dwordx4 a[192:195], v43, s[84:87], 0 offen     // 0000000038A8: E05C1000 8095C02B
	buffer_load_dwordx4 a[196:199], v43, s[84:87], 0 offen offset:1024// 0000000038B0: E05C1400 8095C42B
	buffer_load_dwordx4 a[200:203], v44, s[84:87], 0 offen     // 0000000038B8: E05C1000 8095C82C
	buffer_load_dwordx4 a[204:207], v44, s[84:87], 0 offen offset:1024// 0000000038C0: E05C1400 8095CC2C
	s_add_u32 s84, s83, s84                                    // 0000000038C8: 80545453
	s_addc_u32 s85, 0, s85                                     // 0000000038CC: 82555580
	s_addk_i32 s80, 0x80                                       // 0000000038D0: B7500080
	s_cmp_lt_i32 s80, s81                                      // 0000000038D4: BF045150
	s_cbranch_scc0 label_0744                                  // 0000000038D8: BF84038D
	s_waitcnt vmcnt(18) lgkmcnt(0)                             // 0000000038DC: BF8C4072
	v_mfma_f32_16x16x32_fp8_fp8 v[48:51], a[80:81], a[0:1], v[48:51]// 0000000038E0: D3F30030 1CC20150
	v_mfma_f32_16x16x32_fp8_fp8 v[48:51], a[82:83], a[2:3], v[48:51]// 0000000038E8: D3F30030 1CC20552
	buffer_load_dwordx4 a[16:19], v37, s[24:27], 0 offen       // 0000000038F0: E05C1000 80861025
	v_mfma_f32_16x16x32_fp8_fp8 v[48:51], a[84:85], a[4:5], v[48:51]// 0000000038F8: D3F30030 1CC20954
	v_mfma_f32_16x16x32_fp8_fp8 v[48:51], a[86:87], a[6:7], v[48:51]// 000000003900: D3F30030 1CC20D56
	v_mfma_f32_16x16x32_fp8_fp8 v[52:55], a[88:89], a[0:1], v[52:55]// 000000003908: D3F30034 1CD20158
	v_mfma_f32_16x16x32_fp8_fp8 v[52:55], a[90:91], a[2:3], v[52:55]// 000000003910: D3F30034 1CD2055A
	buffer_load_dwordx4 a[20:23], v37, s[24:27], 0 offen offset:1024// 000000003918: E05C1400 80861425
	v_mfma_f32_16x16x32_fp8_fp8 v[52:55], a[92:93], a[4:5], v[52:55]// 000000003920: D3F30034 1CD2095C
	v_mfma_f32_16x16x32_fp8_fp8 v[52:55], a[94:95], a[6:7], v[52:55]// 000000003928: D3F30034 1CD20D5E
	v_mfma_f32_16x16x32_fp8_fp8 v[56:59], a[96:97], a[0:1], v[56:59]// 000000003930: D3F30038 1CE20160
	v_mfma_f32_16x16x32_fp8_fp8 v[56:59], a[98:99], a[2:3], v[56:59]// 000000003938: D3F30038 1CE20562
	buffer_load_dwordx4 a[24:27], v38, s[24:27], 0 offen       // 000000003940: E05C1000 80861826
	v_mfma_f32_16x16x32_fp8_fp8 v[56:59], a[100:101], a[4:5], v[56:59]// 000000003948: D3F30038 1CE20964
	v_mfma_f32_16x16x32_fp8_fp8 v[56:59], a[102:103], a[6:7], v[56:59]// 000000003950: D3F30038 1CE20D66
	v_mfma_f32_16x16x32_fp8_fp8 v[60:63], a[104:105], a[0:1], v[60:63]// 000000003958: D3F3003C 1CF20168
	v_mfma_f32_16x16x32_fp8_fp8 v[60:63], a[106:107], a[2:3], v[60:63]// 000000003960: D3F3003C 1CF2056A
	buffer_load_dwordx4 a[28:31], v38, s[24:27], 0 offen offset:1024// 000000003968: E05C1400 80861C26
	v_mfma_f32_16x16x32_fp8_fp8 v[60:63], a[108:109], a[4:5], v[60:63]// 000000003970: D3F3003C 1CF2096C
	v_mfma_f32_16x16x32_fp8_fp8 v[60:63], a[110:111], a[6:7], v[60:63]// 000000003978: D3F3003C 1CF20D6E
	v_mfma_f32_16x16x32_fp8_fp8 v[64:67], a[112:113], a[0:1], v[64:67]// 000000003980: D3F30040 1D020170
	v_mfma_f32_16x16x32_fp8_fp8 v[64:67], a[114:115], a[2:3], v[64:67]// 000000003988: D3F30040 1D020572
	buffer_load_dwordx4 a[32:35], v39, s[24:27], 0 offen       // 000000003990: E05C1000 80862027
	v_mfma_f32_16x16x32_fp8_fp8 v[64:67], a[116:117], a[4:5], v[64:67]// 000000003998: D3F30040 1D020974
	v_mfma_f32_16x16x32_fp8_fp8 v[64:67], a[118:119], a[6:7], v[64:67]// 0000000039A0: D3F30040 1D020D76
	v_mfma_f32_16x16x32_fp8_fp8 v[68:71], a[120:121], a[0:1], v[68:71]// 0000000039A8: D3F30044 1D120178
	v_mfma_f32_16x16x32_fp8_fp8 v[68:71], a[122:123], a[2:3], v[68:71]// 0000000039B0: D3F30044 1D12057A
	buffer_load_dwordx4 a[36:39], v39, s[24:27], 0 offen offset:1024// 0000000039B8: E05C1400 80862427
	v_mfma_f32_16x16x32_fp8_fp8 v[68:71], a[124:125], a[4:5], v[68:71]// 0000000039C0: D3F30044 1D12097C
	v_mfma_f32_16x16x32_fp8_fp8 v[68:71], a[126:127], a[6:7], v[68:71]// 0000000039C8: D3F30044 1D120D7E
	v_mfma_f32_16x16x32_fp8_fp8 v[72:75], a[128:129], a[0:1], v[72:75]// 0000000039D0: D3F30048 1D220180
	v_mfma_f32_16x16x32_fp8_fp8 v[72:75], a[130:131], a[2:3], v[72:75]// 0000000039D8: D3F30048 1D220582
	buffer_load_dwordx4 a[40:43], v40, s[24:27], 0 offen       // 0000000039E0: E05C1000 80862828
	v_mfma_f32_16x16x32_fp8_fp8 v[72:75], a[132:133], a[4:5], v[72:75]// 0000000039E8: D3F30048 1D220984
	v_mfma_f32_16x16x32_fp8_fp8 v[72:75], a[134:135], a[6:7], v[72:75]// 0000000039F0: D3F30048 1D220D86
	v_mfma_f32_16x16x32_fp8_fp8 v[76:79], a[136:137], a[0:1], v[76:79]// 0000000039F8: D3F3004C 1D320188
	v_mfma_f32_16x16x32_fp8_fp8 v[76:79], a[138:139], a[2:3], v[76:79]// 000000003A00: D3F3004C 1D32058A
	buffer_load_dwordx4 a[44:47], v40, s[24:27], 0 offen offset:1024// 000000003A08: E05C1400 80862C28
	v_mfma_f32_16x16x32_fp8_fp8 v[76:79], a[140:141], a[4:5], v[76:79]// 000000003A10: D3F3004C 1D32098C
	v_mfma_f32_16x16x32_fp8_fp8 v[76:79], a[142:143], a[6:7], v[76:79]// 000000003A18: D3F3004C 1D320D8E
	buffer_load_dwordx4 a[48:51], v41, s[24:27], 0 offen       // 000000003A20: E05C1000 80863029
	buffer_load_dwordx4 a[52:55], v41, s[24:27], 0 offen offset:1024// 000000003A28: E05C1400 80863429
	buffer_load_dwordx4 a[56:59], v42, s[24:27], 0 offen       // 000000003A30: E05C1000 8086382A
	buffer_load_dwordx4 a[60:63], v42, s[24:27], 0 offen offset:1024// 000000003A38: E05C1400 80863C2A
	buffer_load_dwordx4 a[64:67], v43, s[24:27], 0 offen       // 000000003A40: E05C1000 8086402B
	buffer_load_dwordx4 a[68:71], v43, s[24:27], 0 offen offset:1024// 000000003A48: E05C1400 8086442B
	buffer_load_dwordx4 a[72:75], v44, s[24:27], 0 offen       // 000000003A50: E05C1000 8086482C
	buffer_load_dwordx4 a[76:79], v44, s[24:27], 0 offen offset:1024// 000000003A58: E05C1400 80864C2C
	buffer_load_dword v35, s[20:23], 0 offen lds               // 000000003A60: E0511000 80050023
	s_add_u32 m0, 0x100, s49                                   // 000000003A68: 807C31FF 00000100
	buffer_load_dword v36, s[20:23], 0 offen lds               // 000000003A70: E0511000 80050024
	s_add_u32 m0, 0, s50                                       // 000000003A78: 807C3280
	s_waitcnt vmcnt(18)                                        // 000000003A7C: BF8C4F72
	s_barrier                                                  // 000000003A80: BF8A0000
	v_mfma_f32_16x16x32_fp8_fp8 v[80:83], a[144:145], a[0:1], v[80:83]// 000000003A84: D3F30050 1D420190
	v_mfma_f32_16x16x32_fp8_fp8 v[80:83], a[146:147], a[2:3], v[80:83]// 000000003A8C: D3F30050 1D420592
	buffer_load_dwordx4 a[80:83], v37, s[84:87], 0 offen       // 000000003A94: E05C1000 80955025
	v_mfma_f32_16x16x32_fp8_fp8 v[80:83], a[148:149], a[4:5], v[80:83]// 000000003A9C: D3F30050 1D420994
	v_mfma_f32_16x16x32_fp8_fp8 v[80:83], a[150:151], a[6:7], v[80:83]// 000000003AA4: D3F30050 1D420D96
	ds_read_b128 a[8:11], v2                                   // 000000003AAC: DBFE0000 08000002
	ds_read_b128 a[12:15], v2 offset:64                        // 000000003AB4: DBFE0040 0C000002
	v_mfma_f32_16x16x32_fp8_fp8 v[84:87], a[152:153], a[0:1], v[84:87]// 000000003ABC: D3F30054 1D520198
	v_mfma_f32_16x16x32_fp8_fp8 v[84:87], a[154:155], a[2:3], v[84:87]// 000000003AC4: D3F30054 1D52059A
	buffer_load_dwordx4 a[84:87], v37, s[84:87], 0 offen offset:1024// 000000003ACC: E05C1400 80955425
	v_mfma_f32_16x16x32_fp8_fp8 v[84:87], a[156:157], a[4:5], v[84:87]// 000000003AD4: D3F30054 1D52099C
	v_mfma_f32_16x16x32_fp8_fp8 v[84:87], a[158:159], a[6:7], v[84:87]// 000000003ADC: D3F30054 1D520D9E
	v_mfma_f32_16x16x32_fp8_fp8 v[88:91], a[160:161], a[0:1], v[88:91]// 000000003AE4: D3F30058 1D6201A0
	v_mfma_f32_16x16x32_fp8_fp8 v[88:91], a[162:163], a[2:3], v[88:91]// 000000003AEC: D3F30058 1D6205A2
	buffer_load_dwordx4 a[88:91], v38, s[84:87], 0 offen       // 000000003AF4: E05C1000 80955826
	v_mfma_f32_16x16x32_fp8_fp8 v[88:91], a[164:165], a[4:5], v[88:91]// 000000003AFC: D3F30058 1D6209A4
	v_mfma_f32_16x16x32_fp8_fp8 v[88:91], a[166:167], a[6:7], v[88:91]// 000000003B04: D3F30058 1D620DA6
	v_mfma_f32_16x16x32_fp8_fp8 v[92:95], a[168:169], a[0:1], v[92:95]// 000000003B0C: D3F3005C 1D7201A8
	v_mfma_f32_16x16x32_fp8_fp8 v[92:95], a[170:171], a[2:3], v[92:95]// 000000003B14: D3F3005C 1D7205AA
	buffer_load_dwordx4 a[92:95], v38, s[84:87], 0 offen offset:1024// 000000003B1C: E05C1400 80955C26
	v_mfma_f32_16x16x32_fp8_fp8 v[92:95], a[172:173], a[4:5], v[92:95]// 000000003B24: D3F3005C 1D7209AC
	v_mfma_f32_16x16x32_fp8_fp8 v[92:95], a[174:175], a[6:7], v[92:95]// 000000003B2C: D3F3005C 1D720DAE
	v_mfma_f32_16x16x32_fp8_fp8 v[96:99], a[176:177], a[0:1], v[96:99]// 000000003B34: D3F30060 1D8201B0
	v_mfma_f32_16x16x32_fp8_fp8 v[96:99], a[178:179], a[2:3], v[96:99]// 000000003B3C: D3F30060 1D8205B2
	buffer_load_dwordx4 a[96:99], v39, s[84:87], 0 offen       // 000000003B44: E05C1000 80956027
	v_mfma_f32_16x16x32_fp8_fp8 v[96:99], a[180:181], a[4:5], v[96:99]// 000000003B4C: D3F30060 1D8209B4
	v_mfma_f32_16x16x32_fp8_fp8 v[96:99], a[182:183], a[6:7], v[96:99]// 000000003B54: D3F30060 1D820DB6
	v_mfma_f32_16x16x32_fp8_fp8 v[100:103], a[184:185], a[0:1], v[100:103]// 000000003B5C: D3F30064 1D9201B8
	v_mfma_f32_16x16x32_fp8_fp8 v[100:103], a[186:187], a[2:3], v[100:103]// 000000003B64: D3F30064 1D9205BA
	buffer_load_dwordx4 a[100:103], v39, s[84:87], 0 offen offset:1024// 000000003B6C: E05C1400 80956427
	v_mfma_f32_16x16x32_fp8_fp8 v[100:103], a[188:189], a[4:5], v[100:103]// 000000003B74: D3F30064 1D9209BC
	v_mfma_f32_16x16x32_fp8_fp8 v[100:103], a[190:191], a[6:7], v[100:103]// 000000003B7C: D3F30064 1D920DBE
	v_mfma_f32_16x16x32_fp8_fp8 v[104:107], a[192:193], a[0:1], v[104:107]// 000000003B84: D3F30068 1DA201C0
	s_add_u32 s60, 0x180, s80                                  // 000000003B8C: 803C50FF 00000180
	s_cmp_lt_u32 s60, s81                                      // 000000003B94: BF0A513C
	s_cselect_b32 s57, s57, 0                                  // 000000003B98: 85398039
	v_mfma_f32_16x16x32_fp8_fp8 v[104:107], a[194:195], a[2:3], v[104:107]// 000000003B9C: D3F30068 1DA205C2
	buffer_load_dwordx4 a[104:107], v40, s[84:87], 0 offen     // 000000003BA4: E05C1000 80956828
	s_add_u32 s60, 0x100, s80                                  // 000000003BAC: 803C50FF 00000100
	s_cmp_lt_u32 s60, s81                                      // 000000003BB4: BF0A513C
	s_cselect_b32 s58, s58, 0                                  // 000000003BB8: 853A803A
	v_mfma_f32_16x16x32_fp8_fp8 v[104:107], a[196:197], a[4:5], v[104:107]// 000000003BBC: D3F30068 1DA209C4
	s_add_u32 s60, 0x100, s80                                  // 000000003BC4: 803C50FF 00000100
	s_cmp_lt_u32 s60, s81                                      // 000000003BCC: BF0A513C
	s_cselect_b32 s83, s83, 0                                  // 000000003BD0: 85538053
	v_mfma_f32_16x16x32_fp8_fp8 v[104:107], a[198:199], a[6:7], v[104:107]// 000000003BD4: D3F30068 1DA20DC6
	s_add_u32 s24, s58, s24                                    // 000000003BDC: 8018183A
	s_addc_u32 s25, 0, s25                                     // 000000003BE0: 82191980
	v_mfma_f32_16x16x32_fp8_fp8 v[108:111], a[200:201], a[0:1], v[108:111]// 000000003BE4: D3F3006C 1DB201C8
	s_add_u32 s20, s57, s20                                    // 000000003BEC: 80141439
	s_addc_u32 s21, 0, s21                                     // 000000003BF0: 82151580
	v_mfma_f32_16x16x32_fp8_fp8 v[108:111], a[202:203], a[2:3], v[108:111]// 000000003BF4: D3F3006C 1DB205CA
	buffer_load_dwordx4 a[108:111], v40, s[84:87], 0 offen offset:1024// 000000003BFC: E05C1400 80956C28
	v_mfma_f32_16x16x32_fp8_fp8 v[108:111], a[204:205], a[4:5], v[108:111]// 000000003C04: D3F3006C 1DB209CC
	v_mfma_f32_16x16x32_fp8_fp8 v[108:111], a[206:207], a[6:7], v[108:111]// 000000003C0C: D3F3006C 1DB20DCE
	buffer_load_dwordx4 a[112:115], v41, s[84:87], 0 offen     // 000000003C14: E05C1000 80957029
	buffer_load_dwordx4 a[116:119], v41, s[84:87], 0 offen offset:1024// 000000003C1C: E05C1400 80957429
	buffer_load_dwordx4 a[120:123], v42, s[84:87], 0 offen     // 000000003C24: E05C1000 8095782A
	buffer_load_dwordx4 a[124:127], v42, s[84:87], 0 offen offset:1024// 000000003C2C: E05C1400 80957C2A
	buffer_load_dwordx4 a[128:131], v43, s[84:87], 0 offen     // 000000003C34: E05C1000 8095802B
	buffer_load_dwordx4 a[132:135], v43, s[84:87], 0 offen offset:1024// 000000003C3C: E05C1400 8095842B
	buffer_load_dwordx4 a[136:139], v44, s[84:87], 0 offen     // 000000003C44: E05C1000 8095882C
	buffer_load_dwordx4 a[140:143], v44, s[84:87], 0 offen offset:1024// 000000003C4C: E05C1400 80958C2C
	s_add_u32 s84, s83, s84                                    // 000000003C54: 80545453
	s_addc_u32 s85, 0, s85                                     // 000000003C58: 82555580
	s_addk_i32 s80, 0x80                                       // 000000003C5C: B7500080
	s_cmp_lt_i32 s80, s81                                      // 000000003C60: BF045150
	s_cbranch_scc0 label_0744                                  // 000000003C64: BF8402AA
	s_waitcnt vmcnt(18) lgkmcnt(0)                             // 000000003C68: BF8C4072
	v_mfma_f32_16x16x32_fp8_fp8 v[48:51], a[16:17], a[8:9], v[48:51]// 000000003C6C: D3F30030 1CC21110
	v_mfma_f32_16x16x32_fp8_fp8 v[48:51], a[18:19], a[10:11], v[48:51]// 000000003C74: D3F30030 1CC21512
	buffer_load_dwordx4 a[144:147], v37, s[24:27], 0 offen     // 000000003C7C: E05C1000 80869025
	v_mfma_f32_16x16x32_fp8_fp8 v[48:51], a[20:21], a[12:13], v[48:51]// 000000003C84: D3F30030 1CC21914
	v_mfma_f32_16x16x32_fp8_fp8 v[48:51], a[22:23], a[14:15], v[48:51]// 000000003C8C: D3F30030 1CC21D16
	v_mfma_f32_16x16x32_fp8_fp8 v[52:55], a[24:25], a[8:9], v[52:55]// 000000003C94: D3F30034 1CD21118
	v_mfma_f32_16x16x32_fp8_fp8 v[52:55], a[26:27], a[10:11], v[52:55]// 000000003C9C: D3F30034 1CD2151A
	buffer_load_dwordx4 a[148:151], v37, s[24:27], 0 offen offset:1024// 000000003CA4: E05C1400 80869425
	v_mfma_f32_16x16x32_fp8_fp8 v[52:55], a[28:29], a[12:13], v[52:55]// 000000003CAC: D3F30034 1CD2191C
	v_mfma_f32_16x16x32_fp8_fp8 v[52:55], a[30:31], a[14:15], v[52:55]// 000000003CB4: D3F30034 1CD21D1E
	v_mfma_f32_16x16x32_fp8_fp8 v[56:59], a[32:33], a[8:9], v[56:59]// 000000003CBC: D3F30038 1CE21120
	v_mfma_f32_16x16x32_fp8_fp8 v[56:59], a[34:35], a[10:11], v[56:59]// 000000003CC4: D3F30038 1CE21522
	buffer_load_dwordx4 a[152:155], v38, s[24:27], 0 offen     // 000000003CCC: E05C1000 80869826
	v_mfma_f32_16x16x32_fp8_fp8 v[56:59], a[36:37], a[12:13], v[56:59]// 000000003CD4: D3F30038 1CE21924
	v_mfma_f32_16x16x32_fp8_fp8 v[56:59], a[38:39], a[14:15], v[56:59]// 000000003CDC: D3F30038 1CE21D26
	v_mfma_f32_16x16x32_fp8_fp8 v[60:63], a[40:41], a[8:9], v[60:63]// 000000003CE4: D3F3003C 1CF21128
	v_mfma_f32_16x16x32_fp8_fp8 v[60:63], a[42:43], a[10:11], v[60:63]// 000000003CEC: D3F3003C 1CF2152A
	buffer_load_dwordx4 a[156:159], v38, s[24:27], 0 offen offset:1024// 000000003CF4: E05C1400 80869C26
	v_mfma_f32_16x16x32_fp8_fp8 v[60:63], a[44:45], a[12:13], v[60:63]// 000000003CFC: D3F3003C 1CF2192C
	v_mfma_f32_16x16x32_fp8_fp8 v[60:63], a[46:47], a[14:15], v[60:63]// 000000003D04: D3F3003C 1CF21D2E
	v_mfma_f32_16x16x32_fp8_fp8 v[64:67], a[48:49], a[8:9], v[64:67]// 000000003D0C: D3F30040 1D021130
	v_mfma_f32_16x16x32_fp8_fp8 v[64:67], a[50:51], a[10:11], v[64:67]// 000000003D14: D3F30040 1D021532
	buffer_load_dwordx4 a[160:163], v39, s[24:27], 0 offen     // 000000003D1C: E05C1000 8086A027
	v_mfma_f32_16x16x32_fp8_fp8 v[64:67], a[52:53], a[12:13], v[64:67]// 000000003D24: D3F30040 1D021934
	v_mfma_f32_16x16x32_fp8_fp8 v[64:67], a[54:55], a[14:15], v[64:67]// 000000003D2C: D3F30040 1D021D36
	v_mfma_f32_16x16x32_fp8_fp8 v[68:71], a[56:57], a[8:9], v[68:71]// 000000003D34: D3F30044 1D121138
	v_mfma_f32_16x16x32_fp8_fp8 v[68:71], a[58:59], a[10:11], v[68:71]// 000000003D3C: D3F30044 1D12153A
	buffer_load_dwordx4 a[164:167], v39, s[24:27], 0 offen offset:1024// 000000003D44: E05C1400 8086A427
	v_mfma_f32_16x16x32_fp8_fp8 v[68:71], a[60:61], a[12:13], v[68:71]// 000000003D4C: D3F30044 1D12193C
	v_mfma_f32_16x16x32_fp8_fp8 v[68:71], a[62:63], a[14:15], v[68:71]// 000000003D54: D3F30044 1D121D3E
	v_mfma_f32_16x16x32_fp8_fp8 v[72:75], a[64:65], a[8:9], v[72:75]// 000000003D5C: D3F30048 1D221140
	v_mfma_f32_16x16x32_fp8_fp8 v[72:75], a[66:67], a[10:11], v[72:75]// 000000003D64: D3F30048 1D221542
	buffer_load_dwordx4 a[168:171], v40, s[24:27], 0 offen     // 000000003D6C: E05C1000 8086A828
	v_mfma_f32_16x16x32_fp8_fp8 v[72:75], a[68:69], a[12:13], v[72:75]// 000000003D74: D3F30048 1D221944
	v_mfma_f32_16x16x32_fp8_fp8 v[72:75], a[70:71], a[14:15], v[72:75]// 000000003D7C: D3F30048 1D221D46
	v_mfma_f32_16x16x32_fp8_fp8 v[76:79], a[72:73], a[8:9], v[76:79]// 000000003D84: D3F3004C 1D321148
	v_mfma_f32_16x16x32_fp8_fp8 v[76:79], a[74:75], a[10:11], v[76:79]// 000000003D8C: D3F3004C 1D32154A
	buffer_load_dwordx4 a[172:175], v40, s[24:27], 0 offen offset:1024// 000000003D94: E05C1400 8086AC28
	v_mfma_f32_16x16x32_fp8_fp8 v[76:79], a[76:77], a[12:13], v[76:79]// 000000003D9C: D3F3004C 1D32194C
	v_mfma_f32_16x16x32_fp8_fp8 v[76:79], a[78:79], a[14:15], v[76:79]// 000000003DA4: D3F3004C 1D321D4E
	buffer_load_dwordx4 a[176:179], v41, s[24:27], 0 offen     // 000000003DAC: E05C1000 8086B029
	buffer_load_dwordx4 a[180:183], v41, s[24:27], 0 offen offset:1024// 000000003DB4: E05C1400 8086B429
	buffer_load_dwordx4 a[184:187], v42, s[24:27], 0 offen     // 000000003DBC: E05C1000 8086B82A
	buffer_load_dwordx4 a[188:191], v42, s[24:27], 0 offen offset:1024// 000000003DC4: E05C1400 8086BC2A
	buffer_load_dwordx4 a[192:195], v43, s[24:27], 0 offen     // 000000003DCC: E05C1000 8086C02B
	buffer_load_dwordx4 a[196:199], v43, s[24:27], 0 offen offset:1024// 000000003DD4: E05C1400 8086C42B
	buffer_load_dwordx4 a[200:203], v44, s[24:27], 0 offen     // 000000003DDC: E05C1000 8086C82C
	buffer_load_dwordx4 a[204:207], v44, s[24:27], 0 offen offset:1024// 000000003DE4: E05C1400 8086CC2C
	buffer_load_dword v35, s[20:23], 0 offen lds               // 000000003DEC: E0511000 80050023
	s_add_u32 m0, 0x100, s50                                   // 000000003DF4: 807C32FF 00000100
	buffer_load_dword v36, s[20:23], 0 offen lds               // 000000003DFC: E0511000 80050024
	s_add_u32 m0, 0, s48                                       // 000000003E04: 807C3080
	s_waitcnt vmcnt(18)                                        // 000000003E08: BF8C4F72
	s_barrier                                                  // 000000003E0C: BF8A0000
	v_mfma_f32_16x16x32_fp8_fp8 v[80:83], a[80:81], a[8:9], v[80:83]// 000000003E10: D3F30050 1D421150
	v_mfma_f32_16x16x32_fp8_fp8 v[80:83], a[82:83], a[10:11], v[80:83]// 000000003E18: D3F30050 1D421552
	buffer_load_dwordx4 a[16:19], v37, s[84:87], 0 offen       // 000000003E20: E05C1000 80951025
	v_mfma_f32_16x16x32_fp8_fp8 v[80:83], a[84:85], a[12:13], v[80:83]// 000000003E28: D3F30050 1D421954
	v_mfma_f32_16x16x32_fp8_fp8 v[80:83], a[86:87], a[14:15], v[80:83]// 000000003E30: D3F30050 1D421D56
	ds_read_b128 a[0:3], v2 offset:2176                        // 000000003E38: DBFE0880 00000002
	ds_read_b128 a[4:7], v2 offset:2240                        // 000000003E40: DBFE08C0 04000002
	v_mfma_f32_16x16x32_fp8_fp8 v[84:87], a[88:89], a[8:9], v[84:87]// 000000003E48: D3F30054 1D521158
	v_mfma_f32_16x16x32_fp8_fp8 v[84:87], a[90:91], a[10:11], v[84:87]// 000000003E50: D3F30054 1D52155A
	buffer_load_dwordx4 a[20:23], v37, s[84:87], 0 offen offset:1024// 000000003E58: E05C1400 80951425
	v_mfma_f32_16x16x32_fp8_fp8 v[84:87], a[92:93], a[12:13], v[84:87]// 000000003E60: D3F30054 1D52195C
	v_mfma_f32_16x16x32_fp8_fp8 v[84:87], a[94:95], a[14:15], v[84:87]// 000000003E68: D3F30054 1D521D5E
	v_mfma_f32_16x16x32_fp8_fp8 v[88:91], a[96:97], a[8:9], v[88:91]// 000000003E70: D3F30058 1D621160
	v_mfma_f32_16x16x32_fp8_fp8 v[88:91], a[98:99], a[10:11], v[88:91]// 000000003E78: D3F30058 1D621562
	buffer_load_dwordx4 a[24:27], v38, s[84:87], 0 offen       // 000000003E80: E05C1000 80951826
	v_mfma_f32_16x16x32_fp8_fp8 v[88:91], a[100:101], a[12:13], v[88:91]// 000000003E88: D3F30058 1D621964
	v_mfma_f32_16x16x32_fp8_fp8 v[88:91], a[102:103], a[14:15], v[88:91]// 000000003E90: D3F30058 1D621D66
	v_mfma_f32_16x16x32_fp8_fp8 v[92:95], a[104:105], a[8:9], v[92:95]// 000000003E98: D3F3005C 1D721168
	v_mfma_f32_16x16x32_fp8_fp8 v[92:95], a[106:107], a[10:11], v[92:95]// 000000003EA0: D3F3005C 1D72156A
	buffer_load_dwordx4 a[28:31], v38, s[84:87], 0 offen offset:1024// 000000003EA8: E05C1400 80951C26
	v_mfma_f32_16x16x32_fp8_fp8 v[92:95], a[108:109], a[12:13], v[92:95]// 000000003EB0: D3F3005C 1D72196C
	v_mfma_f32_16x16x32_fp8_fp8 v[92:95], a[110:111], a[14:15], v[92:95]// 000000003EB8: D3F3005C 1D721D6E
	v_mfma_f32_16x16x32_fp8_fp8 v[96:99], a[112:113], a[8:9], v[96:99]// 000000003EC0: D3F30060 1D821170
	v_mfma_f32_16x16x32_fp8_fp8 v[96:99], a[114:115], a[10:11], v[96:99]// 000000003EC8: D3F30060 1D821572
	buffer_load_dwordx4 a[32:35], v39, s[84:87], 0 offen       // 000000003ED0: E05C1000 80952027
	v_mfma_f32_16x16x32_fp8_fp8 v[96:99], a[116:117], a[12:13], v[96:99]// 000000003ED8: D3F30060 1D821974
	v_mfma_f32_16x16x32_fp8_fp8 v[96:99], a[118:119], a[14:15], v[96:99]// 000000003EE0: D3F30060 1D821D76
	v_mfma_f32_16x16x32_fp8_fp8 v[100:103], a[120:121], a[8:9], v[100:103]// 000000003EE8: D3F30064 1D921178
	v_mfma_f32_16x16x32_fp8_fp8 v[100:103], a[122:123], a[10:11], v[100:103]// 000000003EF0: D3F30064 1D92157A
	buffer_load_dwordx4 a[36:39], v39, s[84:87], 0 offen offset:1024// 000000003EF8: E05C1400 80952427
	v_mfma_f32_16x16x32_fp8_fp8 v[100:103], a[124:125], a[12:13], v[100:103]// 000000003F00: D3F30064 1D92197C
	v_mfma_f32_16x16x32_fp8_fp8 v[100:103], a[126:127], a[14:15], v[100:103]// 000000003F08: D3F30064 1D921D7E
	v_mfma_f32_16x16x32_fp8_fp8 v[104:107], a[128:129], a[8:9], v[104:107]// 000000003F10: D3F30068 1DA21180
	s_add_u32 s60, 0x180, s80                                  // 000000003F18: 803C50FF 00000180
	s_cmp_lt_u32 s60, s81                                      // 000000003F20: BF0A513C
	s_cselect_b32 s57, s57, 0                                  // 000000003F24: 85398039
	v_mfma_f32_16x16x32_fp8_fp8 v[104:107], a[130:131], a[10:11], v[104:107]// 000000003F28: D3F30068 1DA21582
	buffer_load_dwordx4 a[40:43], v40, s[84:87], 0 offen       // 000000003F30: E05C1000 80952828
	s_add_u32 s60, 0x100, s80                                  // 000000003F38: 803C50FF 00000100
	s_cmp_lt_u32 s60, s81                                      // 000000003F40: BF0A513C
	s_cselect_b32 s58, s58, 0                                  // 000000003F44: 853A803A
	v_mfma_f32_16x16x32_fp8_fp8 v[104:107], a[132:133], a[12:13], v[104:107]// 000000003F48: D3F30068 1DA21984
	s_add_u32 s60, 0x100, s80                                  // 000000003F50: 803C50FF 00000100
	s_cmp_lt_u32 s60, s81                                      // 000000003F58: BF0A513C
	s_cselect_b32 s83, s83, 0                                  // 000000003F5C: 85538053
	v_mfma_f32_16x16x32_fp8_fp8 v[104:107], a[134:135], a[14:15], v[104:107]// 000000003F60: D3F30068 1DA21D86
	s_add_u32 s24, s58, s24                                    // 000000003F68: 8018183A
	s_addc_u32 s25, 0, s25                                     // 000000003F6C: 82191980
	v_mfma_f32_16x16x32_fp8_fp8 v[108:111], a[136:137], a[8:9], v[108:111]// 000000003F70: D3F3006C 1DB21188
	s_add_u32 s20, s57, s20                                    // 000000003F78: 80141439
	s_addc_u32 s21, 0, s21                                     // 000000003F7C: 82151580
	v_mfma_f32_16x16x32_fp8_fp8 v[108:111], a[138:139], a[10:11], v[108:111]// 000000003F80: D3F3006C 1DB2158A
	buffer_load_dwordx4 a[44:47], v40, s[84:87], 0 offen offset:1024// 000000003F88: E05C1400 80952C28
	v_mfma_f32_16x16x32_fp8_fp8 v[108:111], a[140:141], a[12:13], v[108:111]// 000000003F90: D3F3006C 1DB2198C
	v_mfma_f32_16x16x32_fp8_fp8 v[108:111], a[142:143], a[14:15], v[108:111]// 000000003F98: D3F3006C 1DB21D8E
	buffer_load_dwordx4 a[48:51], v41, s[84:87], 0 offen       // 000000003FA0: E05C1000 80953029
	buffer_load_dwordx4 a[52:55], v41, s[84:87], 0 offen offset:1024// 000000003FA8: E05C1400 80953429
	buffer_load_dwordx4 a[56:59], v42, s[84:87], 0 offen       // 000000003FB0: E05C1000 8095382A
	buffer_load_dwordx4 a[60:63], v42, s[84:87], 0 offen offset:1024// 000000003FB8: E05C1400 80953C2A
	buffer_load_dwordx4 a[64:67], v43, s[84:87], 0 offen       // 000000003FC0: E05C1000 8095402B
	buffer_load_dwordx4 a[68:71], v43, s[84:87], 0 offen offset:1024// 000000003FC8: E05C1400 8095442B
	buffer_load_dwordx4 a[72:75], v44, s[84:87], 0 offen       // 000000003FD0: E05C1000 8095482C
	buffer_load_dwordx4 a[76:79], v44, s[84:87], 0 offen offset:1024// 000000003FD8: E05C1400 80954C2C
	s_add_u32 s84, s83, s84                                    // 000000003FE0: 80545453
	s_addc_u32 s85, 0, s85                                     // 000000003FE4: 82555580
	s_addk_i32 s80, 0x80                                       // 000000003FE8: B7500080
	s_cmp_lt_i32 s80, s81                                      // 000000003FEC: BF045150
	s_cbranch_scc0 label_0744                                  // 000000003FF0: BF8401C7
	s_waitcnt vmcnt(18) lgkmcnt(0)                             // 000000003FF4: BF8C4072
	v_mfma_f32_16x16x32_fp8_fp8 v[48:51], a[144:145], a[0:1], v[48:51]// 000000003FF8: D3F30030 1CC20190
	v_mfma_f32_16x16x32_fp8_fp8 v[48:51], a[146:147], a[2:3], v[48:51]// 000000004000: D3F30030 1CC20592
	buffer_load_dwordx4 a[80:83], v37, s[24:27], 0 offen       // 000000004008: E05C1000 80865025
	v_mfma_f32_16x16x32_fp8_fp8 v[48:51], a[148:149], a[4:5], v[48:51]// 000000004010: D3F30030 1CC20994
	v_mfma_f32_16x16x32_fp8_fp8 v[48:51], a[150:151], a[6:7], v[48:51]// 000000004018: D3F30030 1CC20D96
	v_mfma_f32_16x16x32_fp8_fp8 v[52:55], a[152:153], a[0:1], v[52:55]// 000000004020: D3F30034 1CD20198
	v_mfma_f32_16x16x32_fp8_fp8 v[52:55], a[154:155], a[2:3], v[52:55]// 000000004028: D3F30034 1CD2059A
	buffer_load_dwordx4 a[84:87], v37, s[24:27], 0 offen offset:1024// 000000004030: E05C1400 80865425
	v_mfma_f32_16x16x32_fp8_fp8 v[52:55], a[156:157], a[4:5], v[52:55]// 000000004038: D3F30034 1CD2099C
	v_mfma_f32_16x16x32_fp8_fp8 v[52:55], a[158:159], a[6:7], v[52:55]// 000000004040: D3F30034 1CD20D9E
	v_mfma_f32_16x16x32_fp8_fp8 v[56:59], a[160:161], a[0:1], v[56:59]// 000000004048: D3F30038 1CE201A0
	v_mfma_f32_16x16x32_fp8_fp8 v[56:59], a[162:163], a[2:3], v[56:59]// 000000004050: D3F30038 1CE205A2
	buffer_load_dwordx4 a[88:91], v38, s[24:27], 0 offen       // 000000004058: E05C1000 80865826
	v_mfma_f32_16x16x32_fp8_fp8 v[56:59], a[164:165], a[4:5], v[56:59]// 000000004060: D3F30038 1CE209A4
	v_mfma_f32_16x16x32_fp8_fp8 v[56:59], a[166:167], a[6:7], v[56:59]// 000000004068: D3F30038 1CE20DA6
	v_mfma_f32_16x16x32_fp8_fp8 v[60:63], a[168:169], a[0:1], v[60:63]// 000000004070: D3F3003C 1CF201A8
	v_mfma_f32_16x16x32_fp8_fp8 v[60:63], a[170:171], a[2:3], v[60:63]// 000000004078: D3F3003C 1CF205AA
	buffer_load_dwordx4 a[92:95], v38, s[24:27], 0 offen offset:1024// 000000004080: E05C1400 80865C26
	v_mfma_f32_16x16x32_fp8_fp8 v[60:63], a[172:173], a[4:5], v[60:63]// 000000004088: D3F3003C 1CF209AC
	v_mfma_f32_16x16x32_fp8_fp8 v[60:63], a[174:175], a[6:7], v[60:63]// 000000004090: D3F3003C 1CF20DAE
	v_mfma_f32_16x16x32_fp8_fp8 v[64:67], a[176:177], a[0:1], v[64:67]// 000000004098: D3F30040 1D0201B0
	v_mfma_f32_16x16x32_fp8_fp8 v[64:67], a[178:179], a[2:3], v[64:67]// 0000000040A0: D3F30040 1D0205B2
	buffer_load_dwordx4 a[96:99], v39, s[24:27], 0 offen       // 0000000040A8: E05C1000 80866027
	v_mfma_f32_16x16x32_fp8_fp8 v[64:67], a[180:181], a[4:5], v[64:67]// 0000000040B0: D3F30040 1D0209B4
	v_mfma_f32_16x16x32_fp8_fp8 v[64:67], a[182:183], a[6:7], v[64:67]// 0000000040B8: D3F30040 1D020DB6
	v_mfma_f32_16x16x32_fp8_fp8 v[68:71], a[184:185], a[0:1], v[68:71]// 0000000040C0: D3F30044 1D1201B8
	v_mfma_f32_16x16x32_fp8_fp8 v[68:71], a[186:187], a[2:3], v[68:71]// 0000000040C8: D3F30044 1D1205BA
	buffer_load_dwordx4 a[100:103], v39, s[24:27], 0 offen offset:1024// 0000000040D0: E05C1400 80866427
	v_mfma_f32_16x16x32_fp8_fp8 v[68:71], a[188:189], a[4:5], v[68:71]// 0000000040D8: D3F30044 1D1209BC
	v_mfma_f32_16x16x32_fp8_fp8 v[68:71], a[190:191], a[6:7], v[68:71]// 0000000040E0: D3F30044 1D120DBE
	v_mfma_f32_16x16x32_fp8_fp8 v[72:75], a[192:193], a[0:1], v[72:75]// 0000000040E8: D3F30048 1D2201C0
	v_mfma_f32_16x16x32_fp8_fp8 v[72:75], a[194:195], a[2:3], v[72:75]// 0000000040F0: D3F30048 1D2205C2
	buffer_load_dwordx4 a[104:107], v40, s[24:27], 0 offen     // 0000000040F8: E05C1000 80866828
	v_mfma_f32_16x16x32_fp8_fp8 v[72:75], a[196:197], a[4:5], v[72:75]// 000000004100: D3F30048 1D2209C4
	v_mfma_f32_16x16x32_fp8_fp8 v[72:75], a[198:199], a[6:7], v[72:75]// 000000004108: D3F30048 1D220DC6
	v_mfma_f32_16x16x32_fp8_fp8 v[76:79], a[200:201], a[0:1], v[76:79]// 000000004110: D3F3004C 1D3201C8
	v_mfma_f32_16x16x32_fp8_fp8 v[76:79], a[202:203], a[2:3], v[76:79]// 000000004118: D3F3004C 1D3205CA
	buffer_load_dwordx4 a[108:111], v40, s[24:27], 0 offen offset:1024// 000000004120: E05C1400 80866C28
	v_mfma_f32_16x16x32_fp8_fp8 v[76:79], a[204:205], a[4:5], v[76:79]// 000000004128: D3F3004C 1D3209CC
	v_mfma_f32_16x16x32_fp8_fp8 v[76:79], a[206:207], a[6:7], v[76:79]// 000000004130: D3F3004C 1D320DCE
	buffer_load_dwordx4 a[112:115], v41, s[24:27], 0 offen     // 000000004138: E05C1000 80867029
	buffer_load_dwordx4 a[116:119], v41, s[24:27], 0 offen offset:1024// 000000004140: E05C1400 80867429
	buffer_load_dwordx4 a[120:123], v42, s[24:27], 0 offen     // 000000004148: E05C1000 8086782A
	buffer_load_dwordx4 a[124:127], v42, s[24:27], 0 offen offset:1024// 000000004150: E05C1400 80867C2A
	buffer_load_dwordx4 a[128:131], v43, s[24:27], 0 offen     // 000000004158: E05C1000 8086802B
	buffer_load_dwordx4 a[132:135], v43, s[24:27], 0 offen offset:1024// 000000004160: E05C1400 8086842B
	buffer_load_dwordx4 a[136:139], v44, s[24:27], 0 offen     // 000000004168: E05C1000 8086882C
	buffer_load_dwordx4 a[140:143], v44, s[24:27], 0 offen offset:1024// 000000004170: E05C1400 80868C2C
	buffer_load_dword v35, s[20:23], 0 offen lds               // 000000004178: E0511000 80050023
	s_add_u32 m0, 0x100, s48                                   // 000000004180: 807C30FF 00000100
	buffer_load_dword v36, s[20:23], 0 offen lds               // 000000004188: E0511000 80050024
	s_add_u32 m0, 0, s49                                       // 000000004190: 807C3180
	s_waitcnt vmcnt(18)                                        // 000000004194: BF8C4F72
	s_barrier                                                  // 000000004198: BF8A0000
	v_mfma_f32_16x16x32_fp8_fp8 v[80:83], a[16:17], a[0:1], v[80:83]// 00000000419C: D3F30050 1D420110
	v_mfma_f32_16x16x32_fp8_fp8 v[80:83], a[18:19], a[2:3], v[80:83]// 0000000041A4: D3F30050 1D420512
	buffer_load_dwordx4 a[144:147], v37, s[84:87], 0 offen     // 0000000041AC: E05C1000 80959025
	v_mfma_f32_16x16x32_fp8_fp8 v[80:83], a[20:21], a[4:5], v[80:83]// 0000000041B4: D3F30050 1D420914
	v_mfma_f32_16x16x32_fp8_fp8 v[80:83], a[22:23], a[6:7], v[80:83]// 0000000041BC: D3F30050 1D420D16
	ds_read_b128 a[8:11], v2 offset:4352                       // 0000000041C4: DBFE1100 08000002
	ds_read_b128 a[12:15], v2 offset:4416                      // 0000000041CC: DBFE1140 0C000002
	v_mfma_f32_16x16x32_fp8_fp8 v[84:87], a[24:25], a[0:1], v[84:87]// 0000000041D4: D3F30054 1D520118
	v_mfma_f32_16x16x32_fp8_fp8 v[84:87], a[26:27], a[2:3], v[84:87]// 0000000041DC: D3F30054 1D52051A
	buffer_load_dwordx4 a[148:151], v37, s[84:87], 0 offen offset:1024// 0000000041E4: E05C1400 80959425
	v_mfma_f32_16x16x32_fp8_fp8 v[84:87], a[28:29], a[4:5], v[84:87]// 0000000041EC: D3F30054 1D52091C
	v_mfma_f32_16x16x32_fp8_fp8 v[84:87], a[30:31], a[6:7], v[84:87]// 0000000041F4: D3F30054 1D520D1E
	v_mfma_f32_16x16x32_fp8_fp8 v[88:91], a[32:33], a[0:1], v[88:91]// 0000000041FC: D3F30058 1D620120
	v_mfma_f32_16x16x32_fp8_fp8 v[88:91], a[34:35], a[2:3], v[88:91]// 000000004204: D3F30058 1D620522
	buffer_load_dwordx4 a[152:155], v38, s[84:87], 0 offen     // 00000000420C: E05C1000 80959826
	v_mfma_f32_16x16x32_fp8_fp8 v[88:91], a[36:37], a[4:5], v[88:91]// 000000004214: D3F30058 1D620924
	v_mfma_f32_16x16x32_fp8_fp8 v[88:91], a[38:39], a[6:7], v[88:91]// 00000000421C: D3F30058 1D620D26
	v_mfma_f32_16x16x32_fp8_fp8 v[92:95], a[40:41], a[0:1], v[92:95]// 000000004224: D3F3005C 1D720128
	v_mfma_f32_16x16x32_fp8_fp8 v[92:95], a[42:43], a[2:3], v[92:95]// 00000000422C: D3F3005C 1D72052A
	buffer_load_dwordx4 a[156:159], v38, s[84:87], 0 offen offset:1024// 000000004234: E05C1400 80959C26
	v_mfma_f32_16x16x32_fp8_fp8 v[92:95], a[44:45], a[4:5], v[92:95]// 00000000423C: D3F3005C 1D72092C
	v_mfma_f32_16x16x32_fp8_fp8 v[92:95], a[46:47], a[6:7], v[92:95]// 000000004244: D3F3005C 1D720D2E
	v_mfma_f32_16x16x32_fp8_fp8 v[96:99], a[48:49], a[0:1], v[96:99]// 00000000424C: D3F30060 1D820130
	v_mfma_f32_16x16x32_fp8_fp8 v[96:99], a[50:51], a[2:3], v[96:99]// 000000004254: D3F30060 1D820532
	buffer_load_dwordx4 a[160:163], v39, s[84:87], 0 offen     // 00000000425C: E05C1000 8095A027
	v_mfma_f32_16x16x32_fp8_fp8 v[96:99], a[52:53], a[4:5], v[96:99]// 000000004264: D3F30060 1D820934
	v_mfma_f32_16x16x32_fp8_fp8 v[96:99], a[54:55], a[6:7], v[96:99]// 00000000426C: D3F30060 1D820D36
	v_mfma_f32_16x16x32_fp8_fp8 v[100:103], a[56:57], a[0:1], v[100:103]// 000000004274: D3F30064 1D920138
	v_mfma_f32_16x16x32_fp8_fp8 v[100:103], a[58:59], a[2:3], v[100:103]// 00000000427C: D3F30064 1D92053A
	buffer_load_dwordx4 a[164:167], v39, s[84:87], 0 offen offset:1024// 000000004284: E05C1400 8095A427
	v_mfma_f32_16x16x32_fp8_fp8 v[100:103], a[60:61], a[4:5], v[100:103]// 00000000428C: D3F30064 1D92093C
	v_mfma_f32_16x16x32_fp8_fp8 v[100:103], a[62:63], a[6:7], v[100:103]// 000000004294: D3F30064 1D920D3E
	v_mfma_f32_16x16x32_fp8_fp8 v[104:107], a[64:65], a[0:1], v[104:107]// 00000000429C: D3F30068 1DA20140
	s_add_u32 s60, 0x180, s80                                  // 0000000042A4: 803C50FF 00000180
	s_cmp_lt_u32 s60, s81                                      // 0000000042AC: BF0A513C
	s_cselect_b32 s57, s57, 0                                  // 0000000042B0: 85398039
	v_mfma_f32_16x16x32_fp8_fp8 v[104:107], a[66:67], a[2:3], v[104:107]// 0000000042B4: D3F30068 1DA20542
	buffer_load_dwordx4 a[168:171], v40, s[84:87], 0 offen     // 0000000042BC: E05C1000 8095A828
	s_add_u32 s60, 0x100, s80                                  // 0000000042C4: 803C50FF 00000100
	s_cmp_lt_u32 s60, s81                                      // 0000000042CC: BF0A513C
	s_cselect_b32 s58, s58, 0                                  // 0000000042D0: 853A803A
	v_mfma_f32_16x16x32_fp8_fp8 v[104:107], a[68:69], a[4:5], v[104:107]// 0000000042D4: D3F30068 1DA20944
	s_add_u32 s60, 0x100, s80                                  // 0000000042DC: 803C50FF 00000100
	s_cmp_lt_u32 s60, s81                                      // 0000000042E4: BF0A513C
	s_cselect_b32 s83, s83, 0                                  // 0000000042E8: 85538053
	v_mfma_f32_16x16x32_fp8_fp8 v[104:107], a[70:71], a[6:7], v[104:107]// 0000000042EC: D3F30068 1DA20D46
	s_add_u32 s24, s58, s24                                    // 0000000042F4: 8018183A
	s_addc_u32 s25, 0, s25                                     // 0000000042F8: 82191980
	v_mfma_f32_16x16x32_fp8_fp8 v[108:111], a[72:73], a[0:1], v[108:111]// 0000000042FC: D3F3006C 1DB20148
	s_add_u32 s20, s57, s20                                    // 000000004304: 80141439
	s_addc_u32 s21, 0, s21                                     // 000000004308: 82151580
	v_mfma_f32_16x16x32_fp8_fp8 v[108:111], a[74:75], a[2:3], v[108:111]// 00000000430C: D3F3006C 1DB2054A
	buffer_load_dwordx4 a[172:175], v40, s[84:87], 0 offen offset:1024// 000000004314: E05C1400 8095AC28
	v_mfma_f32_16x16x32_fp8_fp8 v[108:111], a[76:77], a[4:5], v[108:111]// 00000000431C: D3F3006C 1DB2094C
	v_mfma_f32_16x16x32_fp8_fp8 v[108:111], a[78:79], a[6:7], v[108:111]// 000000004324: D3F3006C 1DB20D4E
	buffer_load_dwordx4 a[176:179], v41, s[84:87], 0 offen     // 00000000432C: E05C1000 8095B029
	buffer_load_dwordx4 a[180:183], v41, s[84:87], 0 offen offset:1024// 000000004334: E05C1400 8095B429
	buffer_load_dwordx4 a[184:187], v42, s[84:87], 0 offen     // 00000000433C: E05C1000 8095B82A
	buffer_load_dwordx4 a[188:191], v42, s[84:87], 0 offen offset:1024// 000000004344: E05C1400 8095BC2A
	buffer_load_dwordx4 a[192:195], v43, s[84:87], 0 offen     // 00000000434C: E05C1000 8095C02B
	buffer_load_dwordx4 a[196:199], v43, s[84:87], 0 offen offset:1024// 000000004354: E05C1400 8095C42B
	buffer_load_dwordx4 a[200:203], v44, s[84:87], 0 offen     // 00000000435C: E05C1000 8095C82C
	buffer_load_dwordx4 a[204:207], v44, s[84:87], 0 offen offset:1024// 000000004364: E05C1400 8095CC2C
	s_add_u32 s84, s83, s84                                    // 00000000436C: 80545453
	s_addc_u32 s85, 0, s85                                     // 000000004370: 82555580
	s_addk_i32 s80, 0x80                                       // 000000004374: B7500080
	s_cmp_lt_i32 s80, s81                                      // 000000004378: BF045150
	s_cbranch_scc0 label_0744                                  // 00000000437C: BF8400E4
	s_waitcnt vmcnt(18) lgkmcnt(0)                             // 000000004380: BF8C4072
	v_mfma_f32_16x16x32_fp8_fp8 v[48:51], a[80:81], a[8:9], v[48:51]// 000000004384: D3F30030 1CC21150
	v_mfma_f32_16x16x32_fp8_fp8 v[48:51], a[82:83], a[10:11], v[48:51]// 00000000438C: D3F30030 1CC21552
	buffer_load_dwordx4 a[16:19], v37, s[24:27], 0 offen       // 000000004394: E05C1000 80861025
	v_mfma_f32_16x16x32_fp8_fp8 v[48:51], a[84:85], a[12:13], v[48:51]// 00000000439C: D3F30030 1CC21954
	v_mfma_f32_16x16x32_fp8_fp8 v[48:51], a[86:87], a[14:15], v[48:51]// 0000000043A4: D3F30030 1CC21D56
	v_mfma_f32_16x16x32_fp8_fp8 v[52:55], a[88:89], a[8:9], v[52:55]// 0000000043AC: D3F30034 1CD21158
	v_mfma_f32_16x16x32_fp8_fp8 v[52:55], a[90:91], a[10:11], v[52:55]// 0000000043B4: D3F30034 1CD2155A
	buffer_load_dwordx4 a[20:23], v37, s[24:27], 0 offen offset:1024// 0000000043BC: E05C1400 80861425
	v_mfma_f32_16x16x32_fp8_fp8 v[52:55], a[92:93], a[12:13], v[52:55]// 0000000043C4: D3F30034 1CD2195C
	v_mfma_f32_16x16x32_fp8_fp8 v[52:55], a[94:95], a[14:15], v[52:55]// 0000000043CC: D3F30034 1CD21D5E
	v_mfma_f32_16x16x32_fp8_fp8 v[56:59], a[96:97], a[8:9], v[56:59]// 0000000043D4: D3F30038 1CE21160
	v_mfma_f32_16x16x32_fp8_fp8 v[56:59], a[98:99], a[10:11], v[56:59]// 0000000043DC: D3F30038 1CE21562
	buffer_load_dwordx4 a[24:27], v38, s[24:27], 0 offen       // 0000000043E4: E05C1000 80861826
	v_mfma_f32_16x16x32_fp8_fp8 v[56:59], a[100:101], a[12:13], v[56:59]// 0000000043EC: D3F30038 1CE21964
	v_mfma_f32_16x16x32_fp8_fp8 v[56:59], a[102:103], a[14:15], v[56:59]// 0000000043F4: D3F30038 1CE21D66
	v_mfma_f32_16x16x32_fp8_fp8 v[60:63], a[104:105], a[8:9], v[60:63]// 0000000043FC: D3F3003C 1CF21168
	v_mfma_f32_16x16x32_fp8_fp8 v[60:63], a[106:107], a[10:11], v[60:63]// 000000004404: D3F3003C 1CF2156A
	buffer_load_dwordx4 a[28:31], v38, s[24:27], 0 offen offset:1024// 00000000440C: E05C1400 80861C26
	v_mfma_f32_16x16x32_fp8_fp8 v[60:63], a[108:109], a[12:13], v[60:63]// 000000004414: D3F3003C 1CF2196C
	v_mfma_f32_16x16x32_fp8_fp8 v[60:63], a[110:111], a[14:15], v[60:63]// 00000000441C: D3F3003C 1CF21D6E
	v_mfma_f32_16x16x32_fp8_fp8 v[64:67], a[112:113], a[8:9], v[64:67]// 000000004424: D3F30040 1D021170
	v_mfma_f32_16x16x32_fp8_fp8 v[64:67], a[114:115], a[10:11], v[64:67]// 00000000442C: D3F30040 1D021572
	buffer_load_dwordx4 a[32:35], v39, s[24:27], 0 offen       // 000000004434: E05C1000 80862027
	v_mfma_f32_16x16x32_fp8_fp8 v[64:67], a[116:117], a[12:13], v[64:67]// 00000000443C: D3F30040 1D021974
	v_mfma_f32_16x16x32_fp8_fp8 v[64:67], a[118:119], a[14:15], v[64:67]// 000000004444: D3F30040 1D021D76
	v_mfma_f32_16x16x32_fp8_fp8 v[68:71], a[120:121], a[8:9], v[68:71]// 00000000444C: D3F30044 1D121178
	v_mfma_f32_16x16x32_fp8_fp8 v[68:71], a[122:123], a[10:11], v[68:71]// 000000004454: D3F30044 1D12157A
	buffer_load_dwordx4 a[36:39], v39, s[24:27], 0 offen offset:1024// 00000000445C: E05C1400 80862427
	v_mfma_f32_16x16x32_fp8_fp8 v[68:71], a[124:125], a[12:13], v[68:71]// 000000004464: D3F30044 1D12197C
	v_mfma_f32_16x16x32_fp8_fp8 v[68:71], a[126:127], a[14:15], v[68:71]// 00000000446C: D3F30044 1D121D7E
	v_mfma_f32_16x16x32_fp8_fp8 v[72:75], a[128:129], a[8:9], v[72:75]// 000000004474: D3F30048 1D221180
	v_mfma_f32_16x16x32_fp8_fp8 v[72:75], a[130:131], a[10:11], v[72:75]// 00000000447C: D3F30048 1D221582
	buffer_load_dwordx4 a[40:43], v40, s[24:27], 0 offen       // 000000004484: E05C1000 80862828
	v_mfma_f32_16x16x32_fp8_fp8 v[72:75], a[132:133], a[12:13], v[72:75]// 00000000448C: D3F30048 1D221984
	v_mfma_f32_16x16x32_fp8_fp8 v[72:75], a[134:135], a[14:15], v[72:75]// 000000004494: D3F30048 1D221D86
	v_mfma_f32_16x16x32_fp8_fp8 v[76:79], a[136:137], a[8:9], v[76:79]// 00000000449C: D3F3004C 1D321188
	v_mfma_f32_16x16x32_fp8_fp8 v[76:79], a[138:139], a[10:11], v[76:79]// 0000000044A4: D3F3004C 1D32158A
	buffer_load_dwordx4 a[44:47], v40, s[24:27], 0 offen offset:1024// 0000000044AC: E05C1400 80862C28
	v_mfma_f32_16x16x32_fp8_fp8 v[76:79], a[140:141], a[12:13], v[76:79]// 0000000044B4: D3F3004C 1D32198C
	v_mfma_f32_16x16x32_fp8_fp8 v[76:79], a[142:143], a[14:15], v[76:79]// 0000000044BC: D3F3004C 1D321D8E
	buffer_load_dwordx4 a[48:51], v41, s[24:27], 0 offen       // 0000000044C4: E05C1000 80863029
	buffer_load_dwordx4 a[52:55], v41, s[24:27], 0 offen offset:1024// 0000000044CC: E05C1400 80863429
	buffer_load_dwordx4 a[56:59], v42, s[24:27], 0 offen       // 0000000044D4: E05C1000 8086382A
	buffer_load_dwordx4 a[60:63], v42, s[24:27], 0 offen offset:1024// 0000000044DC: E05C1400 80863C2A
	buffer_load_dwordx4 a[64:67], v43, s[24:27], 0 offen       // 0000000044E4: E05C1000 8086402B
	buffer_load_dwordx4 a[68:71], v43, s[24:27], 0 offen offset:1024// 0000000044EC: E05C1400 8086442B
	buffer_load_dwordx4 a[72:75], v44, s[24:27], 0 offen       // 0000000044F4: E05C1000 8086482C
	buffer_load_dwordx4 a[76:79], v44, s[24:27], 0 offen offset:1024// 0000000044FC: E05C1400 80864C2C
	buffer_load_dword v35, s[20:23], 0 offen lds               // 000000004504: E0511000 80050023
	s_add_u32 m0, 0x100, s49                                   // 00000000450C: 807C31FF 00000100
	buffer_load_dword v36, s[20:23], 0 offen lds               // 000000004514: E0511000 80050024
	s_add_u32 m0, 0, s50                                       // 00000000451C: 807C3280
	s_waitcnt vmcnt(18)                                        // 000000004520: BF8C4F72
	s_barrier                                                  // 000000004524: BF8A0000
	v_mfma_f32_16x16x32_fp8_fp8 v[80:83], a[144:145], a[8:9], v[80:83]// 000000004528: D3F30050 1D421190
	v_mfma_f32_16x16x32_fp8_fp8 v[80:83], a[146:147], a[10:11], v[80:83]// 000000004530: D3F30050 1D421592
	buffer_load_dwordx4 a[80:83], v37, s[84:87], 0 offen       // 000000004538: E05C1000 80955025
	v_mfma_f32_16x16x32_fp8_fp8 v[80:83], a[148:149], a[12:13], v[80:83]// 000000004540: D3F30050 1D421994
	v_mfma_f32_16x16x32_fp8_fp8 v[80:83], a[150:151], a[14:15], v[80:83]// 000000004548: D3F30050 1D421D96
	ds_read_b128 a[0:3], v2                                    // 000000004550: DBFE0000 00000002
	ds_read_b128 a[4:7], v2 offset:64                          // 000000004558: DBFE0040 04000002
	v_mfma_f32_16x16x32_fp8_fp8 v[84:87], a[152:153], a[8:9], v[84:87]// 000000004560: D3F30054 1D521198
	v_mfma_f32_16x16x32_fp8_fp8 v[84:87], a[154:155], a[10:11], v[84:87]// 000000004568: D3F30054 1D52159A
	buffer_load_dwordx4 a[84:87], v37, s[84:87], 0 offen offset:1024// 000000004570: E05C1400 80955425
	v_mfma_f32_16x16x32_fp8_fp8 v[84:87], a[156:157], a[12:13], v[84:87]// 000000004578: D3F30054 1D52199C
	v_mfma_f32_16x16x32_fp8_fp8 v[84:87], a[158:159], a[14:15], v[84:87]// 000000004580: D3F30054 1D521D9E
	v_mfma_f32_16x16x32_fp8_fp8 v[88:91], a[160:161], a[8:9], v[88:91]// 000000004588: D3F30058 1D6211A0
	v_mfma_f32_16x16x32_fp8_fp8 v[88:91], a[162:163], a[10:11], v[88:91]// 000000004590: D3F30058 1D6215A2
	buffer_load_dwordx4 a[88:91], v38, s[84:87], 0 offen       // 000000004598: E05C1000 80955826
	v_mfma_f32_16x16x32_fp8_fp8 v[88:91], a[164:165], a[12:13], v[88:91]// 0000000045A0: D3F30058 1D6219A4
	v_mfma_f32_16x16x32_fp8_fp8 v[88:91], a[166:167], a[14:15], v[88:91]// 0000000045A8: D3F30058 1D621DA6
	v_mfma_f32_16x16x32_fp8_fp8 v[92:95], a[168:169], a[8:9], v[92:95]// 0000000045B0: D3F3005C 1D7211A8
	v_mfma_f32_16x16x32_fp8_fp8 v[92:95], a[170:171], a[10:11], v[92:95]// 0000000045B8: D3F3005C 1D7215AA
	buffer_load_dwordx4 a[92:95], v38, s[84:87], 0 offen offset:1024// 0000000045C0: E05C1400 80955C26
	v_mfma_f32_16x16x32_fp8_fp8 v[92:95], a[172:173], a[12:13], v[92:95]// 0000000045C8: D3F3005C 1D7219AC
	v_mfma_f32_16x16x32_fp8_fp8 v[92:95], a[174:175], a[14:15], v[92:95]// 0000000045D0: D3F3005C 1D721DAE
	v_mfma_f32_16x16x32_fp8_fp8 v[96:99], a[176:177], a[8:9], v[96:99]// 0000000045D8: D3F30060 1D8211B0
	v_mfma_f32_16x16x32_fp8_fp8 v[96:99], a[178:179], a[10:11], v[96:99]// 0000000045E0: D3F30060 1D8215B2
	buffer_load_dwordx4 a[96:99], v39, s[84:87], 0 offen       // 0000000045E8: E05C1000 80956027
	v_mfma_f32_16x16x32_fp8_fp8 v[96:99], a[180:181], a[12:13], v[96:99]// 0000000045F0: D3F30060 1D8219B4
	v_mfma_f32_16x16x32_fp8_fp8 v[96:99], a[182:183], a[14:15], v[96:99]// 0000000045F8: D3F30060 1D821DB6
	v_mfma_f32_16x16x32_fp8_fp8 v[100:103], a[184:185], a[8:9], v[100:103]// 000000004600: D3F30064 1D9211B8
	v_mfma_f32_16x16x32_fp8_fp8 v[100:103], a[186:187], a[10:11], v[100:103]// 000000004608: D3F30064 1D9215BA
	buffer_load_dwordx4 a[100:103], v39, s[84:87], 0 offen offset:1024// 000000004610: E05C1400 80956427
	v_mfma_f32_16x16x32_fp8_fp8 v[100:103], a[188:189], a[12:13], v[100:103]// 000000004618: D3F30064 1D9219BC
	v_mfma_f32_16x16x32_fp8_fp8 v[100:103], a[190:191], a[14:15], v[100:103]// 000000004620: D3F30064 1D921DBE
	v_mfma_f32_16x16x32_fp8_fp8 v[104:107], a[192:193], a[8:9], v[104:107]// 000000004628: D3F30068 1DA211C0
	s_add_u32 s60, 0x180, s80                                  // 000000004630: 803C50FF 00000180
	s_cmp_lt_u32 s60, s81                                      // 000000004638: BF0A513C
	s_cselect_b32 s57, s57, 0                                  // 00000000463C: 85398039
	v_mfma_f32_16x16x32_fp8_fp8 v[104:107], a[194:195], a[10:11], v[104:107]// 000000004640: D3F30068 1DA215C2
	buffer_load_dwordx4 a[104:107], v40, s[84:87], 0 offen     // 000000004648: E05C1000 80956828
	s_add_u32 s60, 0x100, s80                                  // 000000004650: 803C50FF 00000100
	s_cmp_lt_u32 s60, s81                                      // 000000004658: BF0A513C
	s_cselect_b32 s58, s58, 0                                  // 00000000465C: 853A803A
	v_mfma_f32_16x16x32_fp8_fp8 v[104:107], a[196:197], a[12:13], v[104:107]// 000000004660: D3F30068 1DA219C4
	s_add_u32 s60, 0x100, s80                                  // 000000004668: 803C50FF 00000100
	s_cmp_lt_u32 s60, s81                                      // 000000004670: BF0A513C
	s_cselect_b32 s83, s83, 0                                  // 000000004674: 85538053
	v_mfma_f32_16x16x32_fp8_fp8 v[104:107], a[198:199], a[14:15], v[104:107]// 000000004678: D3F30068 1DA21DC6
	s_add_u32 s24, s58, s24                                    // 000000004680: 8018183A
	s_addc_u32 s25, 0, s25                                     // 000000004684: 82191980
	v_mfma_f32_16x16x32_fp8_fp8 v[108:111], a[200:201], a[8:9], v[108:111]// 000000004688: D3F3006C 1DB211C8
	s_add_u32 s20, s57, s20                                    // 000000004690: 80141439
	s_addc_u32 s21, 0, s21                                     // 000000004694: 82151580
	v_mfma_f32_16x16x32_fp8_fp8 v[108:111], a[202:203], a[10:11], v[108:111]// 000000004698: D3F3006C 1DB215CA
	buffer_load_dwordx4 a[108:111], v40, s[84:87], 0 offen offset:1024// 0000000046A0: E05C1400 80956C28
	v_mfma_f32_16x16x32_fp8_fp8 v[108:111], a[204:205], a[12:13], v[108:111]// 0000000046A8: D3F3006C 1DB219CC
	v_mfma_f32_16x16x32_fp8_fp8 v[108:111], a[206:207], a[14:15], v[108:111]// 0000000046B0: D3F3006C 1DB21DCE
	buffer_load_dwordx4 a[112:115], v41, s[84:87], 0 offen     // 0000000046B8: E05C1000 80957029
	buffer_load_dwordx4 a[116:119], v41, s[84:87], 0 offen offset:1024// 0000000046C0: E05C1400 80957429
	buffer_load_dwordx4 a[120:123], v42, s[84:87], 0 offen     // 0000000046C8: E05C1000 8095782A
	buffer_load_dwordx4 a[124:127], v42, s[84:87], 0 offen offset:1024// 0000000046D0: E05C1400 80957C2A
	buffer_load_dwordx4 a[128:131], v43, s[84:87], 0 offen     // 0000000046D8: E05C1000 8095802B
	buffer_load_dwordx4 a[132:135], v43, s[84:87], 0 offen offset:1024// 0000000046E0: E05C1400 8095842B
	buffer_load_dwordx4 a[136:139], v44, s[84:87], 0 offen     // 0000000046E8: E05C1000 8095882C
	buffer_load_dwordx4 a[140:143], v44, s[84:87], 0 offen offset:1024// 0000000046F0: E05C1400 80958C2C
	s_add_u32 s84, s83, s84                                    // 0000000046F8: 80545453
	s_addc_u32 s85, 0, s85                                     // 0000000046FC: 82555580
	s_addk_i32 s80, 0x80                                       // 000000004700: B7500080
	s_cmp_lt_i32 s80, s81                                      // 000000004704: BF045150
	s_cbranch_scc0 label_0744                                  // 000000004708: BF840001
	s_branch label_01F1                                        // 00000000470C: BF82FAAD

0000000000004710 <label_0744>:
	v_mul_f32_dpp v48, v25, v48 row_newbcast:0 row_mask:0xf bank_mask:0xf// 000000004710: 0A6060FA FF015019
	v_mul_f32_dpp v49, v25, v49 row_newbcast:1 row_mask:0xf bank_mask:0xf// 000000004718: 0A6262FA FF015119
	v_mul_f32_dpp v50, v25, v50 row_newbcast:2 row_mask:0xf bank_mask:0xf// 000000004720: 0A6464FA FF015219
	v_mul_f32_dpp v51, v25, v51 row_newbcast:3 row_mask:0xf bank_mask:0xf// 000000004728: 0A6666FA FF015319
	v_mul_f32_dpp v52, v25, v52 row_newbcast:4 row_mask:0xf bank_mask:0xf// 000000004730: 0A6868FA FF015419
	v_mul_f32_dpp v53, v25, v53 row_newbcast:5 row_mask:0xf bank_mask:0xf// 000000004738: 0A6A6AFA FF015519
	v_mul_f32_dpp v54, v25, v54 row_newbcast:6 row_mask:0xf bank_mask:0xf// 000000004740: 0A6C6CFA FF015619
	v_mul_f32_dpp v55, v25, v55 row_newbcast:7 row_mask:0xf bank_mask:0xf// 000000004748: 0A6E6EFA FF015719
	v_mul_f32_dpp v56, v25, v56 row_newbcast:8 row_mask:0xf bank_mask:0xf// 000000004750: 0A7070FA FF015819
	v_mul_f32_dpp v57, v25, v57 row_newbcast:9 row_mask:0xf bank_mask:0xf// 000000004758: 0A7272FA FF015919
	v_mul_f32_dpp v58, v25, v58 row_newbcast:10 row_mask:0xf bank_mask:0xf// 000000004760: 0A7474FA FF015A19
	v_mul_f32_dpp v59, v25, v59 row_newbcast:11 row_mask:0xf bank_mask:0xf// 000000004768: 0A7676FA FF015B19
	v_mul_f32_dpp v60, v25, v60 row_newbcast:12 row_mask:0xf bank_mask:0xf// 000000004770: 0A7878FA FF015C19
	v_mul_f32_dpp v61, v25, v61 row_newbcast:13 row_mask:0xf bank_mask:0xf// 000000004778: 0A7A7AFA FF015D19
	v_mul_f32_dpp v62, v25, v62 row_newbcast:14 row_mask:0xf bank_mask:0xf// 000000004780: 0A7C7CFA FF015E19
	v_mul_f32_dpp v63, v25, v63 row_newbcast:15 row_mask:0xf bank_mask:0xf// 000000004788: 0A7E7EFA FF015F19
	v_mul_f32_dpp v64, v26, v64 row_newbcast:0 row_mask:0xf bank_mask:0xf// 000000004790: 0A8080FA FF01501A
	v_mul_f32_dpp v65, v26, v65 row_newbcast:1 row_mask:0xf bank_mask:0xf// 000000004798: 0A8282FA FF01511A
	v_mul_f32_dpp v66, v26, v66 row_newbcast:2 row_mask:0xf bank_mask:0xf// 0000000047A0: 0A8484FA FF01521A
	v_mul_f32_dpp v67, v26, v67 row_newbcast:3 row_mask:0xf bank_mask:0xf// 0000000047A8: 0A8686FA FF01531A
	v_mul_f32_dpp v68, v26, v68 row_newbcast:4 row_mask:0xf bank_mask:0xf// 0000000047B0: 0A8888FA FF01541A
	v_mul_f32_dpp v69, v26, v69 row_newbcast:5 row_mask:0xf bank_mask:0xf// 0000000047B8: 0A8A8AFA FF01551A
	v_mul_f32_dpp v70, v26, v70 row_newbcast:6 row_mask:0xf bank_mask:0xf// 0000000047C0: 0A8C8CFA FF01561A
	v_mul_f32_dpp v71, v26, v71 row_newbcast:7 row_mask:0xf bank_mask:0xf// 0000000047C8: 0A8E8EFA FF01571A
	v_mul_f32_dpp v72, v26, v72 row_newbcast:8 row_mask:0xf bank_mask:0xf// 0000000047D0: 0A9090FA FF01581A
	v_mul_f32_dpp v73, v26, v73 row_newbcast:9 row_mask:0xf bank_mask:0xf// 0000000047D8: 0A9292FA FF01591A
	v_mul_f32_dpp v74, v26, v74 row_newbcast:10 row_mask:0xf bank_mask:0xf// 0000000047E0: 0A9494FA FF015A1A
	v_mul_f32_dpp v75, v26, v75 row_newbcast:11 row_mask:0xf bank_mask:0xf// 0000000047E8: 0A9696FA FF015B1A
	v_mul_f32_dpp v76, v26, v76 row_newbcast:12 row_mask:0xf bank_mask:0xf// 0000000047F0: 0A9898FA FF015C1A
	v_mul_f32_dpp v77, v26, v77 row_newbcast:13 row_mask:0xf bank_mask:0xf// 0000000047F8: 0A9A9AFA FF015D1A
	v_mul_f32_dpp v78, v26, v78 row_newbcast:14 row_mask:0xf bank_mask:0xf// 000000004800: 0A9C9CFA FF015E1A
	v_mul_f32_dpp v79, v26, v79 row_newbcast:15 row_mask:0xf bank_mask:0xf// 000000004808: 0A9E9EFA FF015F1A
	v_mul_f32_dpp v80, v28, v80 row_newbcast:0 row_mask:0xf bank_mask:0xf// 000000004810: 0AA0A0FA FF01501C
	v_mul_f32_dpp v81, v28, v81 row_newbcast:1 row_mask:0xf bank_mask:0xf// 000000004818: 0AA2A2FA FF01511C
	v_mul_f32_dpp v82, v28, v82 row_newbcast:2 row_mask:0xf bank_mask:0xf// 000000004820: 0AA4A4FA FF01521C
	v_mul_f32_dpp v83, v28, v83 row_newbcast:3 row_mask:0xf bank_mask:0xf// 000000004828: 0AA6A6FA FF01531C
	v_mul_f32_dpp v84, v28, v84 row_newbcast:4 row_mask:0xf bank_mask:0xf// 000000004830: 0AA8A8FA FF01541C
	v_mul_f32_dpp v85, v28, v85 row_newbcast:5 row_mask:0xf bank_mask:0xf// 000000004838: 0AAAAAFA FF01551C
	v_mul_f32_dpp v86, v28, v86 row_newbcast:6 row_mask:0xf bank_mask:0xf// 000000004840: 0AACACFA FF01561C
	v_mul_f32_dpp v87, v28, v87 row_newbcast:7 row_mask:0xf bank_mask:0xf// 000000004848: 0AAEAEFA FF01571C
	v_mul_f32_dpp v88, v28, v88 row_newbcast:8 row_mask:0xf bank_mask:0xf// 000000004850: 0AB0B0FA FF01581C
	v_mul_f32_dpp v89, v28, v89 row_newbcast:9 row_mask:0xf bank_mask:0xf// 000000004858: 0AB2B2FA FF01591C
	v_mul_f32_dpp v90, v28, v90 row_newbcast:10 row_mask:0xf bank_mask:0xf// 000000004860: 0AB4B4FA FF015A1C
	v_mul_f32_dpp v91, v28, v91 row_newbcast:11 row_mask:0xf bank_mask:0xf// 000000004868: 0AB6B6FA FF015B1C
	v_mul_f32_dpp v92, v28, v92 row_newbcast:12 row_mask:0xf bank_mask:0xf// 000000004870: 0AB8B8FA FF015C1C
	v_mul_f32_dpp v93, v28, v93 row_newbcast:13 row_mask:0xf bank_mask:0xf// 000000004878: 0ABABAFA FF015D1C
	v_mul_f32_dpp v94, v28, v94 row_newbcast:14 row_mask:0xf bank_mask:0xf// 000000004880: 0ABCBCFA FF015E1C
	v_mul_f32_dpp v95, v28, v95 row_newbcast:15 row_mask:0xf bank_mask:0xf// 000000004888: 0ABEBEFA FF015F1C
	v_mul_f32_dpp v96, v29, v96 row_newbcast:0 row_mask:0xf bank_mask:0xf// 000000004890: 0AC0C0FA FF01501D
	v_mul_f32_dpp v97, v29, v97 row_newbcast:1 row_mask:0xf bank_mask:0xf// 000000004898: 0AC2C2FA FF01511D
	v_mul_f32_dpp v98, v29, v98 row_newbcast:2 row_mask:0xf bank_mask:0xf// 0000000048A0: 0AC4C4FA FF01521D
	v_mul_f32_dpp v99, v29, v99 row_newbcast:3 row_mask:0xf bank_mask:0xf// 0000000048A8: 0AC6C6FA FF01531D
	v_mul_f32_dpp v100, v29, v100 row_newbcast:4 row_mask:0xf bank_mask:0xf// 0000000048B0: 0AC8C8FA FF01541D
	v_mul_f32_dpp v101, v29, v101 row_newbcast:5 row_mask:0xf bank_mask:0xf// 0000000048B8: 0ACACAFA FF01551D
	v_mul_f32_dpp v102, v29, v102 row_newbcast:6 row_mask:0xf bank_mask:0xf// 0000000048C0: 0ACCCCFA FF01561D
	v_mul_f32_dpp v103, v29, v103 row_newbcast:7 row_mask:0xf bank_mask:0xf// 0000000048C8: 0ACECEFA FF01571D
	v_mul_f32_dpp v104, v29, v104 row_newbcast:8 row_mask:0xf bank_mask:0xf// 0000000048D0: 0AD0D0FA FF01581D
	v_mul_f32_dpp v105, v29, v105 row_newbcast:9 row_mask:0xf bank_mask:0xf// 0000000048D8: 0AD2D2FA FF01591D
	v_mul_f32_dpp v106, v29, v106 row_newbcast:10 row_mask:0xf bank_mask:0xf// 0000000048E0: 0AD4D4FA FF015A1D
	v_mul_f32_dpp v107, v29, v107 row_newbcast:11 row_mask:0xf bank_mask:0xf// 0000000048E8: 0AD6D6FA FF015B1D
	v_mul_f32_dpp v108, v29, v108 row_newbcast:12 row_mask:0xf bank_mask:0xf// 0000000048F0: 0AD8D8FA FF015C1D
	v_mul_f32_dpp v109, v29, v109 row_newbcast:13 row_mask:0xf bank_mask:0xf// 0000000048F8: 0ADADAFA FF015D1D
	v_mul_f32_dpp v110, v29, v110 row_newbcast:14 row_mask:0xf bank_mask:0xf// 000000004900: 0ADCDCFA FF015E1D
	v_mul_f32_dpp v111, v29, v111 row_newbcast:15 row_mask:0xf bank_mask:0xf// 000000004908: 0ADEDEFA FF015F1D
	v_mov_b32_e32 v4, v32                                      // 000000004910: 7E080320
	v_mov_b32_e32 v5, v4                                       // 000000004914: 7E0A0304
	v_pk_mul_f32 v[48:49], v[4:5], v[48:49]                    // 000000004918: D3B14030 18026104
	v_pk_mul_f32 v[80:81], v[4:5], v[80:81]                    // 000000004920: D3B14050 1802A104
	v_pk_mul_f32 v[50:51], v[4:5], v[50:51]                    // 000000004928: D3B14032 18026504
	v_pk_mul_f32 v[82:83], v[4:5], v[82:83]                    // 000000004930: D3B14052 1802A504
	v_pk_mul_f32 v[52:53], v[4:5], v[52:53]                    // 000000004938: D3B14034 18026904
	v_pk_mul_f32 v[84:85], v[4:5], v[84:85]                    // 000000004940: D3B14054 1802A904
	v_pk_mul_f32 v[54:55], v[4:5], v[54:55]                    // 000000004948: D3B14036 18026D04
	v_pk_mul_f32 v[86:87], v[4:5], v[86:87]                    // 000000004950: D3B14056 1802AD04
	v_pk_mul_f32 v[56:57], v[4:5], v[56:57]                    // 000000004958: D3B14038 18027104
	v_pk_mul_f32 v[88:89], v[4:5], v[88:89]                    // 000000004960: D3B14058 1802B104
	v_pk_mul_f32 v[58:59], v[4:5], v[58:59]                    // 000000004968: D3B1403A 18027504
	v_pk_mul_f32 v[90:91], v[4:5], v[90:91]                    // 000000004970: D3B1405A 1802B504
	v_pk_mul_f32 v[60:61], v[4:5], v[60:61]                    // 000000004978: D3B1403C 18027904
	v_pk_mul_f32 v[92:93], v[4:5], v[92:93]                    // 000000004980: D3B1405C 1802B904
	v_pk_mul_f32 v[62:63], v[4:5], v[62:63]                    // 000000004988: D3B1403E 18027D04
	v_pk_mul_f32 v[94:95], v[4:5], v[94:95]                    // 000000004990: D3B1405E 1802BD04
	v_pk_mul_f32 v[64:65], v[4:5], v[64:65]                    // 000000004998: D3B14040 18028104
	v_pk_mul_f32 v[96:97], v[4:5], v[96:97]                    // 0000000049A0: D3B14060 1802C104
	v_pk_mul_f32 v[66:67], v[4:5], v[66:67]                    // 0000000049A8: D3B14042 18028504
	v_pk_mul_f32 v[98:99], v[4:5], v[98:99]                    // 0000000049B0: D3B14062 1802C504
	v_pk_mul_f32 v[68:69], v[4:5], v[68:69]                    // 0000000049B8: D3B14044 18028904
	v_pk_mul_f32 v[100:101], v[4:5], v[100:101]                // 0000000049C0: D3B14064 1802C904
	v_pk_mul_f32 v[70:71], v[4:5], v[70:71]                    // 0000000049C8: D3B14046 18028D04
	v_pk_mul_f32 v[102:103], v[4:5], v[102:103]                // 0000000049D0: D3B14066 1802CD04
	v_pk_mul_f32 v[72:73], v[4:5], v[72:73]                    // 0000000049D8: D3B14048 18029104
	v_pk_mul_f32 v[104:105], v[4:5], v[104:105]                // 0000000049E0: D3B14068 1802D104
	v_pk_mul_f32 v[74:75], v[4:5], v[74:75]                    // 0000000049E8: D3B1404A 18029504
	v_pk_mul_f32 v[106:107], v[4:5], v[106:107]                // 0000000049F0: D3B1406A 1802D504
	v_pk_mul_f32 v[76:77], v[4:5], v[76:77]                    // 0000000049F8: D3B1404C 18029904
	v_pk_mul_f32 v[108:109], v[4:5], v[108:109]                // 000000004A00: D3B1406C 1802D904
	v_pk_mul_f32 v[78:79], v[4:5], v[78:79]                    // 000000004A08: D3B1404E 18029D04
	v_pk_mul_f32 v[110:111], v[4:5], v[110:111]                // 000000004A10: D3B1406E 1802DD04
	s_cmp_eq_u32 s88, 0                                        // 000000004A18: BF068058
	s_cbranch_scc0 label_0BE5                                  // 000000004A1C: BF8403DD
	s_cmp_eq_u32 s89, 0                                        // 000000004A20: BF068059
	s_cbranch_scc1 label_094F                                  // 000000004A24: BF850145
	v_mov_b32_e32 v8, v1                                       // 000000004A28: 7E100301
	v_mov_b32_e32 v9, v1                                       // 000000004A2C: 7E120301
	s_mov_b32 s60, s6                                          // 000000004A30: BEBC0006
	s_mov_b32 s61, s6                                          // 000000004A34: BEBD0006
	v_pk_mul_f32 v[4:5], v[48:49], v[48:49]                    // 000000004A38: D3B14004 18026130
	v_pk_mul_f32 v[6:7], v[50:51], v[50:51]                    // 000000004A40: D3B14006 18026532
	v_pk_fma_f32 v[4:5], v[4:5], s[78:79], v[8:9]              // 000000004A48: D3B04004 1C209D04
	v_pk_fma_f32 v[6:7], v[6:7], s[78:79], v[8:9]              // 000000004A50: D3B04006 1C209D06
	v_pk_mul_f32 v[4:5], v[4:5], v[48:49]                      // 000000004A58: D3B14004 18026104
	v_pk_mul_f32 v[6:7], v[6:7], v[50:51]                      // 000000004A60: D3B14006 18026506
	v_pk_mul_f32 v[4:5], v[4:5], s[60:61]                      // 000000004A68: D3B14004 18007904
	v_pk_mul_f32 v[6:7], v[6:7], s[60:61]                      // 000000004A70: D3B14006 18007906
	v_exp_f32_e32 v4, v4                                       // 000000004A78: 7E084104
	v_exp_f32_e32 v5, v5                                       // 000000004A7C: 7E0A4105
	v_exp_f32_e32 v6, v6                                       // 000000004A80: 7E0C4106
	v_exp_f32_e32 v7, v7                                       // 000000004A84: 7E0E4107
	v_add_f32_e64 v4, v4, 1.0                                  // 000000004A88: D1010004 0001E504
	v_add_f32_e64 v5, v5, 1.0                                  // 000000004A90: D1010005 0001E505
	v_add_f32_e64 v6, v6, 1.0                                  // 000000004A98: D1010006 0001E506
	v_add_f32_e64 v7, v7, 1.0                                  // 000000004AA0: D1010007 0001E507
	v_rcp_f32_e32 v4, v4                                       // 000000004AA8: 7E084504
	v_rcp_f32_e32 v5, v5                                       // 000000004AAC: 7E0A4505
	v_rcp_f32_e32 v6, v6                                       // 000000004AB0: 7E0C4506
	v_rcp_f32_e32 v7, v7                                       // 000000004AB4: 7E0E4507
	v_mul_f32_e32 v48, v48, v4                                 // 000000004AB8: 0A600930
	v_mul_f32_e32 v49, v49, v5                                 // 000000004ABC: 0A620B31
	v_mul_f32_e32 v50, v50, v6                                 // 000000004AC0: 0A640D32
	v_mul_f32_e32 v51, v51, v7                                 // 000000004AC4: 0A660F33
	v_mul_f32_e32 v48, v48, v80                                // 000000004AC8: 0A60A130
	v_mul_f32_e32 v49, v49, v81                                // 000000004ACC: 0A62A331
	v_mul_f32_e32 v50, v50, v82                                // 000000004AD0: 0A64A532
	v_mul_f32_e32 v51, v51, v83                                // 000000004AD4: 0A66A733
	v_pk_mul_f32 v[4:5], v[52:53], v[52:53]                    // 000000004AD8: D3B14004 18026934
	v_pk_mul_f32 v[6:7], v[54:55], v[54:55]                    // 000000004AE0: D3B14006 18026D36
	v_pk_fma_f32 v[4:5], v[4:5], s[78:79], v[8:9]              // 000000004AE8: D3B04004 1C209D04
	v_pk_fma_f32 v[6:7], v[6:7], s[78:79], v[8:9]              // 000000004AF0: D3B04006 1C209D06
	v_pk_mul_f32 v[4:5], v[4:5], v[52:53]                      // 000000004AF8: D3B14004 18026904
	v_pk_mul_f32 v[6:7], v[6:7], v[54:55]                      // 000000004B00: D3B14006 18026D06
	v_pk_mul_f32 v[4:5], v[4:5], s[60:61]                      // 000000004B08: D3B14004 18007904
	v_pk_mul_f32 v[6:7], v[6:7], s[60:61]                      // 000000004B10: D3B14006 18007906
	v_exp_f32_e32 v4, v4                                       // 000000004B18: 7E084104
	v_exp_f32_e32 v5, v5                                       // 000000004B1C: 7E0A4105
	v_exp_f32_e32 v6, v6                                       // 000000004B20: 7E0C4106
	v_exp_f32_e32 v7, v7                                       // 000000004B24: 7E0E4107
	v_add_f32_e64 v4, v4, 1.0                                  // 000000004B28: D1010004 0001E504
	v_add_f32_e64 v5, v5, 1.0                                  // 000000004B30: D1010005 0001E505
	v_add_f32_e64 v6, v6, 1.0                                  // 000000004B38: D1010006 0001E506
	v_add_f32_e64 v7, v7, 1.0                                  // 000000004B40: D1010007 0001E507
	v_rcp_f32_e32 v4, v4                                       // 000000004B48: 7E084504
	v_rcp_f32_e32 v5, v5                                       // 000000004B4C: 7E0A4505
	v_rcp_f32_e32 v6, v6                                       // 000000004B50: 7E0C4506
	v_rcp_f32_e32 v7, v7                                       // 000000004B54: 7E0E4507
	v_mul_f32_e32 v52, v52, v4                                 // 000000004B58: 0A680934
	v_mul_f32_e32 v53, v53, v5                                 // 000000004B5C: 0A6A0B35
	v_mul_f32_e32 v54, v54, v6                                 // 000000004B60: 0A6C0D36
	v_mul_f32_e32 v55, v55, v7                                 // 000000004B64: 0A6E0F37
	v_mul_f32_e32 v52, v52, v84                                // 000000004B68: 0A68A934
	v_mul_f32_e32 v53, v53, v85                                // 000000004B6C: 0A6AAB35
	v_mul_f32_e32 v54, v54, v86                                // 000000004B70: 0A6CAD36
	v_mul_f32_e32 v55, v55, v87                                // 000000004B74: 0A6EAF37
	v_pk_mul_f32 v[4:5], v[56:57], v[56:57]                    // 000000004B78: D3B14004 18027138
	v_pk_mul_f32 v[6:7], v[58:59], v[58:59]                    // 000000004B80: D3B14006 1802753A
	v_pk_fma_f32 v[4:5], v[4:5], s[78:79], v[8:9]              // 000000004B88: D3B04004 1C209D04
	v_pk_fma_f32 v[6:7], v[6:7], s[78:79], v[8:9]              // 000000004B90: D3B04006 1C209D06
	v_pk_mul_f32 v[4:5], v[4:5], v[56:57]                      // 000000004B98: D3B14004 18027104
	v_pk_mul_f32 v[6:7], v[6:7], v[58:59]                      // 000000004BA0: D3B14006 18027506
	v_pk_mul_f32 v[4:5], v[4:5], s[60:61]                      // 000000004BA8: D3B14004 18007904
	v_pk_mul_f32 v[6:7], v[6:7], s[60:61]                      // 000000004BB0: D3B14006 18007906
	v_exp_f32_e32 v4, v4                                       // 000000004BB8: 7E084104
	v_exp_f32_e32 v5, v5                                       // 000000004BBC: 7E0A4105
	v_exp_f32_e32 v6, v6                                       // 000000004BC0: 7E0C4106
	v_exp_f32_e32 v7, v7                                       // 000000004BC4: 7E0E4107
	v_add_f32_e64 v4, v4, 1.0                                  // 000000004BC8: D1010004 0001E504
	v_add_f32_e64 v5, v5, 1.0                                  // 000000004BD0: D1010005 0001E505
	v_add_f32_e64 v6, v6, 1.0                                  // 000000004BD8: D1010006 0001E506
	v_add_f32_e64 v7, v7, 1.0                                  // 000000004BE0: D1010007 0001E507
	v_rcp_f32_e32 v4, v4                                       // 000000004BE8: 7E084504
	v_rcp_f32_e32 v5, v5                                       // 000000004BEC: 7E0A4505
	v_rcp_f32_e32 v6, v6                                       // 000000004BF0: 7E0C4506
	v_rcp_f32_e32 v7, v7                                       // 000000004BF4: 7E0E4507
	v_mul_f32_e32 v56, v56, v4                                 // 000000004BF8: 0A700938
	v_mul_f32_e32 v57, v57, v5                                 // 000000004BFC: 0A720B39
	v_mul_f32_e32 v58, v58, v6                                 // 000000004C00: 0A740D3A
	v_mul_f32_e32 v59, v59, v7                                 // 000000004C04: 0A760F3B
	v_mul_f32_e32 v56, v56, v88                                // 000000004C08: 0A70B138
	v_mul_f32_e32 v57, v57, v89                                // 000000004C0C: 0A72B339
	v_mul_f32_e32 v58, v58, v90                                // 000000004C10: 0A74B53A
	v_mul_f32_e32 v59, v59, v91                                // 000000004C14: 0A76B73B
	v_pk_mul_f32 v[4:5], v[60:61], v[60:61]                    // 000000004C18: D3B14004 1802793C
	v_pk_mul_f32 v[6:7], v[62:63], v[62:63]                    // 000000004C20: D3B14006 18027D3E
	v_pk_fma_f32 v[4:5], v[4:5], s[78:79], v[8:9]              // 000000004C28: D3B04004 1C209D04
	v_pk_fma_f32 v[6:7], v[6:7], s[78:79], v[8:9]              // 000000004C30: D3B04006 1C209D06
	v_pk_mul_f32 v[4:5], v[4:5], v[60:61]                      // 000000004C38: D3B14004 18027904
	v_pk_mul_f32 v[6:7], v[6:7], v[62:63]                      // 000000004C40: D3B14006 18027D06
	v_pk_mul_f32 v[4:5], v[4:5], s[60:61]                      // 000000004C48: D3B14004 18007904
	v_pk_mul_f32 v[6:7], v[6:7], s[60:61]                      // 000000004C50: D3B14006 18007906
	v_exp_f32_e32 v4, v4                                       // 000000004C58: 7E084104
	v_exp_f32_e32 v5, v5                                       // 000000004C5C: 7E0A4105
	v_exp_f32_e32 v6, v6                                       // 000000004C60: 7E0C4106
	v_exp_f32_e32 v7, v7                                       // 000000004C64: 7E0E4107
	v_add_f32_e64 v4, v4, 1.0                                  // 000000004C68: D1010004 0001E504
	v_add_f32_e64 v5, v5, 1.0                                  // 000000004C70: D1010005 0001E505
	v_add_f32_e64 v6, v6, 1.0                                  // 000000004C78: D1010006 0001E506
	v_add_f32_e64 v7, v7, 1.0                                  // 000000004C80: D1010007 0001E507
	v_rcp_f32_e32 v4, v4                                       // 000000004C88: 7E084504
	v_rcp_f32_e32 v5, v5                                       // 000000004C8C: 7E0A4505
	v_rcp_f32_e32 v6, v6                                       // 000000004C90: 7E0C4506
	v_rcp_f32_e32 v7, v7                                       // 000000004C94: 7E0E4507
	v_mul_f32_e32 v60, v60, v4                                 // 000000004C98: 0A78093C
	v_mul_f32_e32 v61, v61, v5                                 // 000000004C9C: 0A7A0B3D
	v_mul_f32_e32 v62, v62, v6                                 // 000000004CA0: 0A7C0D3E
	v_mul_f32_e32 v63, v63, v7                                 // 000000004CA4: 0A7E0F3F
	v_mul_f32_e32 v60, v60, v92                                // 000000004CA8: 0A78B93C
	v_mul_f32_e32 v61, v61, v93                                // 000000004CAC: 0A7ABB3D
	v_mul_f32_e32 v62, v62, v94                                // 000000004CB0: 0A7CBD3E
	v_mul_f32_e32 v63, v63, v95                                // 000000004CB4: 0A7EBF3F
	v_pk_mul_f32 v[4:5], v[64:65], v[64:65]                    // 000000004CB8: D3B14004 18028140
	v_pk_mul_f32 v[6:7], v[66:67], v[66:67]                    // 000000004CC0: D3B14006 18028542
	v_pk_fma_f32 v[4:5], v[4:5], s[78:79], v[8:9]              // 000000004CC8: D3B04004 1C209D04
	v_pk_fma_f32 v[6:7], v[6:7], s[78:79], v[8:9]              // 000000004CD0: D3B04006 1C209D06
	v_pk_mul_f32 v[4:5], v[4:5], v[64:65]                      // 000000004CD8: D3B14004 18028104
	v_pk_mul_f32 v[6:7], v[6:7], v[66:67]                      // 000000004CE0: D3B14006 18028506
	v_pk_mul_f32 v[4:5], v[4:5], s[60:61]                      // 000000004CE8: D3B14004 18007904
	v_pk_mul_f32 v[6:7], v[6:7], s[60:61]                      // 000000004CF0: D3B14006 18007906
	v_exp_f32_e32 v4, v4                                       // 000000004CF8: 7E084104
	v_exp_f32_e32 v5, v5                                       // 000000004CFC: 7E0A4105
	v_exp_f32_e32 v6, v6                                       // 000000004D00: 7E0C4106
	v_exp_f32_e32 v7, v7                                       // 000000004D04: 7E0E4107
	v_add_f32_e64 v4, v4, 1.0                                  // 000000004D08: D1010004 0001E504
	v_add_f32_e64 v5, v5, 1.0                                  // 000000004D10: D1010005 0001E505
	v_add_f32_e64 v6, v6, 1.0                                  // 000000004D18: D1010006 0001E506
	v_add_f32_e64 v7, v7, 1.0                                  // 000000004D20: D1010007 0001E507
	v_rcp_f32_e32 v4, v4                                       // 000000004D28: 7E084504
	v_rcp_f32_e32 v5, v5                                       // 000000004D2C: 7E0A4505
	v_rcp_f32_e32 v6, v6                                       // 000000004D30: 7E0C4506
	v_rcp_f32_e32 v7, v7                                       // 000000004D34: 7E0E4507
	v_mul_f32_e32 v64, v64, v4                                 // 000000004D38: 0A800940
	v_mul_f32_e32 v65, v65, v5                                 // 000000004D3C: 0A820B41
	v_mul_f32_e32 v66, v66, v6                                 // 000000004D40: 0A840D42
	v_mul_f32_e32 v67, v67, v7                                 // 000000004D44: 0A860F43
	v_mul_f32_e32 v64, v64, v96                                // 000000004D48: 0A80C140
	v_mul_f32_e32 v65, v65, v97                                // 000000004D4C: 0A82C341
	v_mul_f32_e32 v66, v66, v98                                // 000000004D50: 0A84C542
	v_mul_f32_e32 v67, v67, v99                                // 000000004D54: 0A86C743
	v_pk_mul_f32 v[4:5], v[68:69], v[68:69]                    // 000000004D58: D3B14004 18028944
	v_pk_mul_f32 v[6:7], v[70:71], v[70:71]                    // 000000004D60: D3B14006 18028D46
	v_pk_fma_f32 v[4:5], v[4:5], s[78:79], v[8:9]              // 000000004D68: D3B04004 1C209D04
	v_pk_fma_f32 v[6:7], v[6:7], s[78:79], v[8:9]              // 000000004D70: D3B04006 1C209D06
	v_pk_mul_f32 v[4:5], v[4:5], v[68:69]                      // 000000004D78: D3B14004 18028904
	v_pk_mul_f32 v[6:7], v[6:7], v[70:71]                      // 000000004D80: D3B14006 18028D06
	v_pk_mul_f32 v[4:5], v[4:5], s[60:61]                      // 000000004D88: D3B14004 18007904
	v_pk_mul_f32 v[6:7], v[6:7], s[60:61]                      // 000000004D90: D3B14006 18007906
	v_exp_f32_e32 v4, v4                                       // 000000004D98: 7E084104
	v_exp_f32_e32 v5, v5                                       // 000000004D9C: 7E0A4105
	v_exp_f32_e32 v6, v6                                       // 000000004DA0: 7E0C4106
	v_exp_f32_e32 v7, v7                                       // 000000004DA4: 7E0E4107
	v_add_f32_e64 v4, v4, 1.0                                  // 000000004DA8: D1010004 0001E504
	v_add_f32_e64 v5, v5, 1.0                                  // 000000004DB0: D1010005 0001E505
	v_add_f32_e64 v6, v6, 1.0                                  // 000000004DB8: D1010006 0001E506
	v_add_f32_e64 v7, v7, 1.0                                  // 000000004DC0: D1010007 0001E507
	v_rcp_f32_e32 v4, v4                                       // 000000004DC8: 7E084504
	v_rcp_f32_e32 v5, v5                                       // 000000004DCC: 7E0A4505
	v_rcp_f32_e32 v6, v6                                       // 000000004DD0: 7E0C4506
	v_rcp_f32_e32 v7, v7                                       // 000000004DD4: 7E0E4507
	v_mul_f32_e32 v68, v68, v4                                 // 000000004DD8: 0A880944
	v_mul_f32_e32 v69, v69, v5                                 // 000000004DDC: 0A8A0B45
	v_mul_f32_e32 v70, v70, v6                                 // 000000004DE0: 0A8C0D46
	v_mul_f32_e32 v71, v71, v7                                 // 000000004DE4: 0A8E0F47
	v_mul_f32_e32 v68, v68, v100                               // 000000004DE8: 0A88C944
	v_mul_f32_e32 v69, v69, v101                               // 000000004DEC: 0A8ACB45
	v_mul_f32_e32 v70, v70, v102                               // 000000004DF0: 0A8CCD46
	v_mul_f32_e32 v71, v71, v103                               // 000000004DF4: 0A8ECF47
	v_pk_mul_f32 v[4:5], v[72:73], v[72:73]                    // 000000004DF8: D3B14004 18029148
	v_pk_mul_f32 v[6:7], v[74:75], v[74:75]                    // 000000004E00: D3B14006 1802954A
	v_pk_fma_f32 v[4:5], v[4:5], s[78:79], v[8:9]              // 000000004E08: D3B04004 1C209D04
	v_pk_fma_f32 v[6:7], v[6:7], s[78:79], v[8:9]              // 000000004E10: D3B04006 1C209D06
	v_pk_mul_f32 v[4:5], v[4:5], v[72:73]                      // 000000004E18: D3B14004 18029104
	v_pk_mul_f32 v[6:7], v[6:7], v[74:75]                      // 000000004E20: D3B14006 18029506
	v_pk_mul_f32 v[4:5], v[4:5], s[60:61]                      // 000000004E28: D3B14004 18007904
	v_pk_mul_f32 v[6:7], v[6:7], s[60:61]                      // 000000004E30: D3B14006 18007906
	v_exp_f32_e32 v4, v4                                       // 000000004E38: 7E084104
	v_exp_f32_e32 v5, v5                                       // 000000004E3C: 7E0A4105
	v_exp_f32_e32 v6, v6                                       // 000000004E40: 7E0C4106
	v_exp_f32_e32 v7, v7                                       // 000000004E44: 7E0E4107
	v_add_f32_e64 v4, v4, 1.0                                  // 000000004E48: D1010004 0001E504
	v_add_f32_e64 v5, v5, 1.0                                  // 000000004E50: D1010005 0001E505
	v_add_f32_e64 v6, v6, 1.0                                  // 000000004E58: D1010006 0001E506
	v_add_f32_e64 v7, v7, 1.0                                  // 000000004E60: D1010007 0001E507
	v_rcp_f32_e32 v4, v4                                       // 000000004E68: 7E084504
	v_rcp_f32_e32 v5, v5                                       // 000000004E6C: 7E0A4505
	v_rcp_f32_e32 v6, v6                                       // 000000004E70: 7E0C4506
	v_rcp_f32_e32 v7, v7                                       // 000000004E74: 7E0E4507
	v_mul_f32_e32 v72, v72, v4                                 // 000000004E78: 0A900948
	v_mul_f32_e32 v73, v73, v5                                 // 000000004E7C: 0A920B49
	v_mul_f32_e32 v74, v74, v6                                 // 000000004E80: 0A940D4A
	v_mul_f32_e32 v75, v75, v7                                 // 000000004E84: 0A960F4B
	v_mul_f32_e32 v72, v72, v104                               // 000000004E88: 0A90D148
	v_mul_f32_e32 v73, v73, v105                               // 000000004E8C: 0A92D349
	v_mul_f32_e32 v74, v74, v106                               // 000000004E90: 0A94D54A
	v_mul_f32_e32 v75, v75, v107                               // 000000004E94: 0A96D74B
	v_pk_mul_f32 v[4:5], v[76:77], v[76:77]                    // 000000004E98: D3B14004 1802994C
	v_pk_mul_f32 v[6:7], v[78:79], v[78:79]                    // 000000004EA0: D3B14006 18029D4E
	v_pk_fma_f32 v[4:5], v[4:5], s[78:79], v[8:9]              // 000000004EA8: D3B04004 1C209D04
	v_pk_fma_f32 v[6:7], v[6:7], s[78:79], v[8:9]              // 000000004EB0: D3B04006 1C209D06
	v_pk_mul_f32 v[4:5], v[4:5], v[76:77]                      // 000000004EB8: D3B14004 18029904
	v_pk_mul_f32 v[6:7], v[6:7], v[78:79]                      // 000000004EC0: D3B14006 18029D06
	v_pk_mul_f32 v[4:5], v[4:5], s[60:61]                      // 000000004EC8: D3B14004 18007904
	v_pk_mul_f32 v[6:7], v[6:7], s[60:61]                      // 000000004ED0: D3B14006 18007906
	v_exp_f32_e32 v4, v4                                       // 000000004ED8: 7E084104
	v_exp_f32_e32 v5, v5                                       // 000000004EDC: 7E0A4105
	v_exp_f32_e32 v6, v6                                       // 000000004EE0: 7E0C4106
	v_exp_f32_e32 v7, v7                                       // 000000004EE4: 7E0E4107
	v_add_f32_e64 v4, v4, 1.0                                  // 000000004EE8: D1010004 0001E504
	v_add_f32_e64 v5, v5, 1.0                                  // 000000004EF0: D1010005 0001E505
	v_add_f32_e64 v6, v6, 1.0                                  // 000000004EF8: D1010006 0001E506
	v_add_f32_e64 v7, v7, 1.0                                  // 000000004F00: D1010007 0001E507
	v_rcp_f32_e32 v4, v4                                       // 000000004F08: 7E084504
	v_rcp_f32_e32 v5, v5                                       // 000000004F0C: 7E0A4505
	v_rcp_f32_e32 v6, v6                                       // 000000004F10: 7E0C4506
	v_rcp_f32_e32 v7, v7                                       // 000000004F14: 7E0E4507
	v_mul_f32_e32 v76, v76, v4                                 // 000000004F18: 0A98094C
	v_mul_f32_e32 v77, v77, v5                                 // 000000004F1C: 0A9A0B4D
	v_mul_f32_e32 v78, v78, v6                                 // 000000004F20: 0A9C0D4E
	v_mul_f32_e32 v79, v79, v7                                 // 000000004F24: 0A9E0F4F
	v_mul_f32_e32 v76, v76, v108                               // 000000004F28: 0A98D94C
	v_mul_f32_e32 v77, v77, v109                               // 000000004F2C: 0A9ADB4D
	v_mul_f32_e32 v78, v78, v110                               // 000000004F30: 0A9CDD4E
	v_mul_f32_e32 v79, v79, v111                               // 000000004F34: 0A9EDF4F
	s_branch label_0A4F                                        // 000000004F38: BF820100

0000000000004f3c <label_094F>:
	v_mul_f32_e64 v4, -v48, s6                                 // 000000004F3C: D1050004 20000D30
	v_mul_f32_e64 v5, -v49, s6                                 // 000000004F44: D1050005 20000D31
	v_mul_f32_e64 v6, -v50, s6                                 // 000000004F4C: D1050006 20000D32
	v_mul_f32_e64 v7, -v51, s6                                 // 000000004F54: D1050007 20000D33
	v_exp_f32_e32 v4, v4                                       // 000000004F5C: 7E084104
	v_exp_f32_e32 v5, v5                                       // 000000004F60: 7E0A4105
	v_exp_f32_e32 v6, v6                                       // 000000004F64: 7E0C4106
	v_exp_f32_e32 v7, v7                                       // 000000004F68: 7E0E4107
	v_add_f32_e64 v4, v4, 1.0                                  // 000000004F6C: D1010004 0001E504
	v_add_f32_e64 v5, v5, 1.0                                  // 000000004F74: D1010005 0001E505
	v_add_f32_e64 v6, v6, 1.0                                  // 000000004F7C: D1010006 0001E506
	v_add_f32_e64 v7, v7, 1.0                                  // 000000004F84: D1010007 0001E507
	v_rcp_f32_e32 v4, v4                                       // 000000004F8C: 7E084504
	v_rcp_f32_e32 v5, v5                                       // 000000004F90: 7E0A4505
	v_rcp_f32_e32 v6, v6                                       // 000000004F94: 7E0C4506
	v_rcp_f32_e32 v7, v7                                       // 000000004F98: 7E0E4507
	v_mul_f32_e32 v48, v48, v4                                 // 000000004F9C: 0A600930
	v_mul_f32_e32 v49, v49, v5                                 // 000000004FA0: 0A620B31
	v_mul_f32_e32 v50, v50, v6                                 // 000000004FA4: 0A640D32
	v_mul_f32_e32 v51, v51, v7                                 // 000000004FA8: 0A660F33
	v_mul_f32_e32 v48, v48, v80                                // 000000004FAC: 0A60A130
	v_mul_f32_e32 v49, v49, v81                                // 000000004FB0: 0A62A331
	v_mul_f32_e32 v50, v50, v82                                // 000000004FB4: 0A64A532
	v_mul_f32_e32 v51, v51, v83                                // 000000004FB8: 0A66A733
	v_mul_f32_e64 v4, -v52, s6                                 // 000000004FBC: D1050004 20000D34
	v_mul_f32_e64 v5, -v53, s6                                 // 000000004FC4: D1050005 20000D35
	v_mul_f32_e64 v6, -v54, s6                                 // 000000004FCC: D1050006 20000D36
	v_mul_f32_e64 v7, -v55, s6                                 // 000000004FD4: D1050007 20000D37
	v_exp_f32_e32 v4, v4                                       // 000000004FDC: 7E084104
	v_exp_f32_e32 v5, v5                                       // 000000004FE0: 7E0A4105
	v_exp_f32_e32 v6, v6                                       // 000000004FE4: 7E0C4106
	v_exp_f32_e32 v7, v7                                       // 000000004FE8: 7E0E4107
	v_add_f32_e64 v4, v4, 1.0                                  // 000000004FEC: D1010004 0001E504
	v_add_f32_e64 v5, v5, 1.0                                  // 000000004FF4: D1010005 0001E505
	v_add_f32_e64 v6, v6, 1.0                                  // 000000004FFC: D1010006 0001E506
	v_add_f32_e64 v7, v7, 1.0                                  // 000000005004: D1010007 0001E507
	v_rcp_f32_e32 v4, v4                                       // 00000000500C: 7E084504
	v_rcp_f32_e32 v5, v5                                       // 000000005010: 7E0A4505
	v_rcp_f32_e32 v6, v6                                       // 000000005014: 7E0C4506
	v_rcp_f32_e32 v7, v7                                       // 000000005018: 7E0E4507
	v_mul_f32_e32 v52, v52, v4                                 // 00000000501C: 0A680934
	v_mul_f32_e32 v53, v53, v5                                 // 000000005020: 0A6A0B35
	v_mul_f32_e32 v54, v54, v6                                 // 000000005024: 0A6C0D36
	v_mul_f32_e32 v55, v55, v7                                 // 000000005028: 0A6E0F37
	v_mul_f32_e32 v52, v52, v84                                // 00000000502C: 0A68A934
	v_mul_f32_e32 v53, v53, v85                                // 000000005030: 0A6AAB35
	v_mul_f32_e32 v54, v54, v86                                // 000000005034: 0A6CAD36
	v_mul_f32_e32 v55, v55, v87                                // 000000005038: 0A6EAF37
	v_mul_f32_e64 v4, -v56, s6                                 // 00000000503C: D1050004 20000D38
	v_mul_f32_e64 v5, -v57, s6                                 // 000000005044: D1050005 20000D39
	v_mul_f32_e64 v6, -v58, s6                                 // 00000000504C: D1050006 20000D3A
	v_mul_f32_e64 v7, -v59, s6                                 // 000000005054: D1050007 20000D3B
	v_exp_f32_e32 v4, v4                                       // 00000000505C: 7E084104
	v_exp_f32_e32 v5, v5                                       // 000000005060: 7E0A4105
	v_exp_f32_e32 v6, v6                                       // 000000005064: 7E0C4106
	v_exp_f32_e32 v7, v7                                       // 000000005068: 7E0E4107
	v_add_f32_e64 v4, v4, 1.0                                  // 00000000506C: D1010004 0001E504
	v_add_f32_e64 v5, v5, 1.0                                  // 000000005074: D1010005 0001E505
	v_add_f32_e64 v6, v6, 1.0                                  // 00000000507C: D1010006 0001E506
	v_add_f32_e64 v7, v7, 1.0                                  // 000000005084: D1010007 0001E507
	v_rcp_f32_e32 v4, v4                                       // 00000000508C: 7E084504
	v_rcp_f32_e32 v5, v5                                       // 000000005090: 7E0A4505
	v_rcp_f32_e32 v6, v6                                       // 000000005094: 7E0C4506
	v_rcp_f32_e32 v7, v7                                       // 000000005098: 7E0E4507
	v_mul_f32_e32 v56, v56, v4                                 // 00000000509C: 0A700938
	v_mul_f32_e32 v57, v57, v5                                 // 0000000050A0: 0A720B39
	v_mul_f32_e32 v58, v58, v6                                 // 0000000050A4: 0A740D3A
	v_mul_f32_e32 v59, v59, v7                                 // 0000000050A8: 0A760F3B
	v_mul_f32_e32 v56, v56, v88                                // 0000000050AC: 0A70B138
	v_mul_f32_e32 v57, v57, v89                                // 0000000050B0: 0A72B339
	v_mul_f32_e32 v58, v58, v90                                // 0000000050B4: 0A74B53A
	v_mul_f32_e32 v59, v59, v91                                // 0000000050B8: 0A76B73B
	v_mul_f32_e64 v4, -v60, s6                                 // 0000000050BC: D1050004 20000D3C
	v_mul_f32_e64 v5, -v61, s6                                 // 0000000050C4: D1050005 20000D3D
	v_mul_f32_e64 v6, -v62, s6                                 // 0000000050CC: D1050006 20000D3E
	v_mul_f32_e64 v7, -v63, s6                                 // 0000000050D4: D1050007 20000D3F
	v_exp_f32_e32 v4, v4                                       // 0000000050DC: 7E084104
	v_exp_f32_e32 v5, v5                                       // 0000000050E0: 7E0A4105
	v_exp_f32_e32 v6, v6                                       // 0000000050E4: 7E0C4106
	v_exp_f32_e32 v7, v7                                       // 0000000050E8: 7E0E4107
	v_add_f32_e64 v4, v4, 1.0                                  // 0000000050EC: D1010004 0001E504
	v_add_f32_e64 v5, v5, 1.0                                  // 0000000050F4: D1010005 0001E505
	v_add_f32_e64 v6, v6, 1.0                                  // 0000000050FC: D1010006 0001E506
	v_add_f32_e64 v7, v7, 1.0                                  // 000000005104: D1010007 0001E507
	v_rcp_f32_e32 v4, v4                                       // 00000000510C: 7E084504
	v_rcp_f32_e32 v5, v5                                       // 000000005110: 7E0A4505
	v_rcp_f32_e32 v6, v6                                       // 000000005114: 7E0C4506
	v_rcp_f32_e32 v7, v7                                       // 000000005118: 7E0E4507
	v_mul_f32_e32 v60, v60, v4                                 // 00000000511C: 0A78093C
	v_mul_f32_e32 v61, v61, v5                                 // 000000005120: 0A7A0B3D
	v_mul_f32_e32 v62, v62, v6                                 // 000000005124: 0A7C0D3E
	v_mul_f32_e32 v63, v63, v7                                 // 000000005128: 0A7E0F3F
	v_mul_f32_e32 v60, v60, v92                                // 00000000512C: 0A78B93C
	v_mul_f32_e32 v61, v61, v93                                // 000000005130: 0A7ABB3D
	v_mul_f32_e32 v62, v62, v94                                // 000000005134: 0A7CBD3E
	v_mul_f32_e32 v63, v63, v95                                // 000000005138: 0A7EBF3F
	v_mul_f32_e64 v4, -v64, s6                                 // 00000000513C: D1050004 20000D40
	v_mul_f32_e64 v5, -v65, s6                                 // 000000005144: D1050005 20000D41
	v_mul_f32_e64 v6, -v66, s6                                 // 00000000514C: D1050006 20000D42
	v_mul_f32_e64 v7, -v67, s6                                 // 000000005154: D1050007 20000D43
	v_exp_f32_e32 v4, v4                                       // 00000000515C: 7E084104
	v_exp_f32_e32 v5, v5                                       // 000000005160: 7E0A4105
	v_exp_f32_e32 v6, v6                                       // 000000005164: 7E0C4106
	v_exp_f32_e32 v7, v7                                       // 000000005168: 7E0E4107
	v_add_f32_e64 v4, v4, 1.0                                  // 00000000516C: D1010004 0001E504
	v_add_f32_e64 v5, v5, 1.0                                  // 000000005174: D1010005 0001E505
	v_add_f32_e64 v6, v6, 1.0                                  // 00000000517C: D1010006 0001E506
	v_add_f32_e64 v7, v7, 1.0                                  // 000000005184: D1010007 0001E507
	v_rcp_f32_e32 v4, v4                                       // 00000000518C: 7E084504
	v_rcp_f32_e32 v5, v5                                       // 000000005190: 7E0A4505
	v_rcp_f32_e32 v6, v6                                       // 000000005194: 7E0C4506
	v_rcp_f32_e32 v7, v7                                       // 000000005198: 7E0E4507
	v_mul_f32_e32 v64, v64, v4                                 // 00000000519C: 0A800940
	v_mul_f32_e32 v65, v65, v5                                 // 0000000051A0: 0A820B41
	v_mul_f32_e32 v66, v66, v6                                 // 0000000051A4: 0A840D42
	v_mul_f32_e32 v67, v67, v7                                 // 0000000051A8: 0A860F43
	v_mul_f32_e32 v64, v64, v96                                // 0000000051AC: 0A80C140
	v_mul_f32_e32 v65, v65, v97                                // 0000000051B0: 0A82C341
	v_mul_f32_e32 v66, v66, v98                                // 0000000051B4: 0A84C542
	v_mul_f32_e32 v67, v67, v99                                // 0000000051B8: 0A86C743
	v_mul_f32_e64 v4, -v68, s6                                 // 0000000051BC: D1050004 20000D44
	v_mul_f32_e64 v5, -v69, s6                                 // 0000000051C4: D1050005 20000D45
	v_mul_f32_e64 v6, -v70, s6                                 // 0000000051CC: D1050006 20000D46
	v_mul_f32_e64 v7, -v71, s6                                 // 0000000051D4: D1050007 20000D47
	v_exp_f32_e32 v4, v4                                       // 0000000051DC: 7E084104
	v_exp_f32_e32 v5, v5                                       // 0000000051E0: 7E0A4105
	v_exp_f32_e32 v6, v6                                       // 0000000051E4: 7E0C4106
	v_exp_f32_e32 v7, v7                                       // 0000000051E8: 7E0E4107
	v_add_f32_e64 v4, v4, 1.0                                  // 0000000051EC: D1010004 0001E504
	v_add_f32_e64 v5, v5, 1.0                                  // 0000000051F4: D1010005 0001E505
	v_add_f32_e64 v6, v6, 1.0                                  // 0000000051FC: D1010006 0001E506
	v_add_f32_e64 v7, v7, 1.0                                  // 000000005204: D1010007 0001E507
	v_rcp_f32_e32 v4, v4                                       // 00000000520C: 7E084504
	v_rcp_f32_e32 v5, v5                                       // 000000005210: 7E0A4505
	v_rcp_f32_e32 v6, v6                                       // 000000005214: 7E0C4506
	v_rcp_f32_e32 v7, v7                                       // 000000005218: 7E0E4507
	v_mul_f32_e32 v68, v68, v4                                 // 00000000521C: 0A880944
	v_mul_f32_e32 v69, v69, v5                                 // 000000005220: 0A8A0B45
	v_mul_f32_e32 v70, v70, v6                                 // 000000005224: 0A8C0D46
	v_mul_f32_e32 v71, v71, v7                                 // 000000005228: 0A8E0F47
	v_mul_f32_e32 v68, v68, v100                               // 00000000522C: 0A88C944
	v_mul_f32_e32 v69, v69, v101                               // 000000005230: 0A8ACB45
	v_mul_f32_e32 v70, v70, v102                               // 000000005234: 0A8CCD46
	v_mul_f32_e32 v71, v71, v103                               // 000000005238: 0A8ECF47
	v_mul_f32_e64 v4, -v72, s6                                 // 00000000523C: D1050004 20000D48
	v_mul_f32_e64 v5, -v73, s6                                 // 000000005244: D1050005 20000D49
	v_mul_f32_e64 v6, -v74, s6                                 // 00000000524C: D1050006 20000D4A
	v_mul_f32_e64 v7, -v75, s6                                 // 000000005254: D1050007 20000D4B
	v_exp_f32_e32 v4, v4                                       // 00000000525C: 7E084104
	v_exp_f32_e32 v5, v5                                       // 000000005260: 7E0A4105
	v_exp_f32_e32 v6, v6                                       // 000000005264: 7E0C4106
	v_exp_f32_e32 v7, v7                                       // 000000005268: 7E0E4107
	v_add_f32_e64 v4, v4, 1.0                                  // 00000000526C: D1010004 0001E504
	v_add_f32_e64 v5, v5, 1.0                                  // 000000005274: D1010005 0001E505
	v_add_f32_e64 v6, v6, 1.0                                  // 00000000527C: D1010006 0001E506
	v_add_f32_e64 v7, v7, 1.0                                  // 000000005284: D1010007 0001E507
	v_rcp_f32_e32 v4, v4                                       // 00000000528C: 7E084504
	v_rcp_f32_e32 v5, v5                                       // 000000005290: 7E0A4505
	v_rcp_f32_e32 v6, v6                                       // 000000005294: 7E0C4506
	v_rcp_f32_e32 v7, v7                                       // 000000005298: 7E0E4507
	v_mul_f32_e32 v72, v72, v4                                 // 00000000529C: 0A900948
	v_mul_f32_e32 v73, v73, v5                                 // 0000000052A0: 0A920B49
	v_mul_f32_e32 v74, v74, v6                                 // 0000000052A4: 0A940D4A
	v_mul_f32_e32 v75, v75, v7                                 // 0000000052A8: 0A960F4B
	v_mul_f32_e32 v72, v72, v104                               // 0000000052AC: 0A90D148
	v_mul_f32_e32 v73, v73, v105                               // 0000000052B0: 0A92D349
	v_mul_f32_e32 v74, v74, v106                               // 0000000052B4: 0A94D54A
	v_mul_f32_e32 v75, v75, v107                               // 0000000052B8: 0A96D74B
	v_mul_f32_e64 v4, -v76, s6                                 // 0000000052BC: D1050004 20000D4C
	v_mul_f32_e64 v5, -v77, s6                                 // 0000000052C4: D1050005 20000D4D
	v_mul_f32_e64 v6, -v78, s6                                 // 0000000052CC: D1050006 20000D4E
	v_mul_f32_e64 v7, -v79, s6                                 // 0000000052D4: D1050007 20000D4F
	v_exp_f32_e32 v4, v4                                       // 0000000052DC: 7E084104
	v_exp_f32_e32 v5, v5                                       // 0000000052E0: 7E0A4105
	v_exp_f32_e32 v6, v6                                       // 0000000052E4: 7E0C4106
	v_exp_f32_e32 v7, v7                                       // 0000000052E8: 7E0E4107
	v_add_f32_e64 v4, v4, 1.0                                  // 0000000052EC: D1010004 0001E504
	v_add_f32_e64 v5, v5, 1.0                                  // 0000000052F4: D1010005 0001E505
	v_add_f32_e64 v6, v6, 1.0                                  // 0000000052FC: D1010006 0001E506
	v_add_f32_e64 v7, v7, 1.0                                  // 000000005304: D1010007 0001E507
	v_rcp_f32_e32 v4, v4                                       // 00000000530C: 7E084504
	v_rcp_f32_e32 v5, v5                                       // 000000005310: 7E0A4505
	v_rcp_f32_e32 v6, v6                                       // 000000005314: 7E0C4506
	v_rcp_f32_e32 v7, v7                                       // 000000005318: 7E0E4507
	v_mul_f32_e32 v76, v76, v4                                 // 00000000531C: 0A98094C
	v_mul_f32_e32 v77, v77, v5                                 // 000000005320: 0A9A0B4D
	v_mul_f32_e32 v78, v78, v6                                 // 000000005324: 0A9C0D4E
	v_mul_f32_e32 v79, v79, v7                                 // 000000005328: 0A9E0F4F
	v_mul_f32_e32 v76, v76, v108                               // 00000000532C: 0A98D94C
	v_mul_f32_e32 v77, v77, v109                               // 000000005330: 0A9ADB4D
	v_mul_f32_e32 v78, v78, v110                               // 000000005334: 0A9CDD4E
	v_mul_f32_e32 v79, v79, v111                               // 000000005338: 0A9EDF4F

000000000000533c <label_0A4F>:
	v_cmp_u_f32_e64 s[46:47], v48, v48                         // 00000000533C: D048002E 00026130
	v_add3_u32 v16, v48, v19, 1                                // 000000005344: D1FF0010 02062730
	v_cndmask_b32_e64 v4, v16, v18, s[46:47]                   // 00000000534C: D1000004 00BA2510
	v_cmp_u_f32_e64 s[46:47], v49, v49                         // 000000005354: D048002E 00026331
	v_add3_u32 v16, v49, v19, 1                                // 00000000535C: D1FF0010 02062731
	v_cndmask_b32_e64 v5, v16, v18, s[46:47]                   // 000000005364: D1000005 00BA2510
	v_perm_b32 v48, v5, v4, s52                                // 00000000536C: D1ED0030 00D20905
	v_cmp_u_f32_e64 s[46:47], v50, v50                         // 000000005374: D048002E 00026532
	v_add3_u32 v16, v50, v19, 1                                // 00000000537C: D1FF0010 02062732
	v_cndmask_b32_e64 v4, v16, v18, s[46:47]                   // 000000005384: D1000004 00BA2510
	v_cmp_u_f32_e64 s[46:47], v51, v51                         // 00000000538C: D048002E 00026733
	v_add3_u32 v16, v51, v19, 1                                // 000000005394: D1FF0010 02062733
	v_cndmask_b32_e64 v5, v16, v18, s[46:47]                   // 00000000539C: D1000005 00BA2510
	v_perm_b32 v49, v5, v4, s52                                // 0000000053A4: D1ED0031 00D20905
	v_cmp_u_f32_e64 s[46:47], v52, v52                         // 0000000053AC: D048002E 00026934
	v_add3_u32 v16, v52, v19, 1                                // 0000000053B4: D1FF0010 02062734
	v_cndmask_b32_e64 v4, v16, v18, s[46:47]                   // 0000000053BC: D1000004 00BA2510
	v_cmp_u_f32_e64 s[46:47], v53, v53                         // 0000000053C4: D048002E 00026B35
	v_add3_u32 v16, v53, v19, 1                                // 0000000053CC: D1FF0010 02062735
	v_cndmask_b32_e64 v5, v16, v18, s[46:47]                   // 0000000053D4: D1000005 00BA2510
	v_perm_b32 v50, v5, v4, s52                                // 0000000053DC: D1ED0032 00D20905
	v_cmp_u_f32_e64 s[46:47], v54, v54                         // 0000000053E4: D048002E 00026D36
	v_add3_u32 v16, v54, v19, 1                                // 0000000053EC: D1FF0010 02062736
	v_cndmask_b32_e64 v4, v16, v18, s[46:47]                   // 0000000053F4: D1000004 00BA2510
	v_cmp_u_f32_e64 s[46:47], v55, v55                         // 0000000053FC: D048002E 00026F37
	v_add3_u32 v16, v55, v19, 1                                // 000000005404: D1FF0010 02062737
	v_cndmask_b32_e64 v5, v16, v18, s[46:47]                   // 00000000540C: D1000005 00BA2510
	v_perm_b32 v51, v5, v4, s52                                // 000000005414: D1ED0033 00D20905
	v_cmp_u_f32_e64 s[46:47], v56, v56                         // 00000000541C: D048002E 00027138
	v_add3_u32 v16, v56, v19, 1                                // 000000005424: D1FF0010 02062738
	v_cndmask_b32_e64 v4, v16, v18, s[46:47]                   // 00000000542C: D1000004 00BA2510
	v_cmp_u_f32_e64 s[46:47], v57, v57                         // 000000005434: D048002E 00027339
	v_add3_u32 v16, v57, v19, 1                                // 00000000543C: D1FF0010 02062739
	v_cndmask_b32_e64 v5, v16, v18, s[46:47]                   // 000000005444: D1000005 00BA2510
	v_perm_b32 v52, v5, v4, s52                                // 00000000544C: D1ED0034 00D20905
	v_cmp_u_f32_e64 s[46:47], v58, v58                         // 000000005454: D048002E 0002753A
	v_add3_u32 v16, v58, v19, 1                                // 00000000545C: D1FF0010 0206273A
	v_cndmask_b32_e64 v4, v16, v18, s[46:47]                   // 000000005464: D1000004 00BA2510
	v_cmp_u_f32_e64 s[46:47], v59, v59                         // 00000000546C: D048002E 0002773B
	v_add3_u32 v16, v59, v19, 1                                // 000000005474: D1FF0010 0206273B
	v_cndmask_b32_e64 v5, v16, v18, s[46:47]                   // 00000000547C: D1000005 00BA2510
	v_perm_b32 v53, v5, v4, s52                                // 000000005484: D1ED0035 00D20905
	v_cmp_u_f32_e64 s[46:47], v60, v60                         // 00000000548C: D048002E 0002793C
	v_add3_u32 v16, v60, v19, 1                                // 000000005494: D1FF0010 0206273C
	v_cndmask_b32_e64 v4, v16, v18, s[46:47]                   // 00000000549C: D1000004 00BA2510
	v_cmp_u_f32_e64 s[46:47], v61, v61                         // 0000000054A4: D048002E 00027B3D
	v_add3_u32 v16, v61, v19, 1                                // 0000000054AC: D1FF0010 0206273D
	v_cndmask_b32_e64 v5, v16, v18, s[46:47]                   // 0000000054B4: D1000005 00BA2510
	v_perm_b32 v54, v5, v4, s52                                // 0000000054BC: D1ED0036 00D20905
	v_cmp_u_f32_e64 s[46:47], v62, v62                         // 0000000054C4: D048002E 00027D3E
	v_add3_u32 v16, v62, v19, 1                                // 0000000054CC: D1FF0010 0206273E
	v_cndmask_b32_e64 v4, v16, v18, s[46:47]                   // 0000000054D4: D1000004 00BA2510
	v_cmp_u_f32_e64 s[46:47], v63, v63                         // 0000000054DC: D048002E 00027F3F
	v_add3_u32 v16, v63, v19, 1                                // 0000000054E4: D1FF0010 0206273F
	v_cndmask_b32_e64 v5, v16, v18, s[46:47]                   // 0000000054EC: D1000005 00BA2510
	v_perm_b32 v55, v5, v4, s52                                // 0000000054F4: D1ED0037 00D20905
	v_cmp_u_f32_e64 s[46:47], v64, v64                         // 0000000054FC: D048002E 00028140
	v_add3_u32 v16, v64, v19, 1                                // 000000005504: D1FF0010 02062740
	v_cndmask_b32_e64 v4, v16, v18, s[46:47]                   // 00000000550C: D1000004 00BA2510
	v_cmp_u_f32_e64 s[46:47], v65, v65                         // 000000005514: D048002E 00028341
	v_add3_u32 v16, v65, v19, 1                                // 00000000551C: D1FF0010 02062741
	v_cndmask_b32_e64 v5, v16, v18, s[46:47]                   // 000000005524: D1000005 00BA2510
	v_perm_b32 v56, v5, v4, s52                                // 00000000552C: D1ED0038 00D20905
	v_cmp_u_f32_e64 s[46:47], v66, v66                         // 000000005534: D048002E 00028542
	v_add3_u32 v16, v66, v19, 1                                // 00000000553C: D1FF0010 02062742
	v_cndmask_b32_e64 v4, v16, v18, s[46:47]                   // 000000005544: D1000004 00BA2510
	v_cmp_u_f32_e64 s[46:47], v67, v67                         // 00000000554C: D048002E 00028743
	v_add3_u32 v16, v67, v19, 1                                // 000000005554: D1FF0010 02062743
	v_cndmask_b32_e64 v5, v16, v18, s[46:47]                   // 00000000555C: D1000005 00BA2510
	v_perm_b32 v57, v5, v4, s52                                // 000000005564: D1ED0039 00D20905
	v_cmp_u_f32_e64 s[46:47], v68, v68                         // 00000000556C: D048002E 00028944
	v_add3_u32 v16, v68, v19, 1                                // 000000005574: D1FF0010 02062744
	v_cndmask_b32_e64 v4, v16, v18, s[46:47]                   // 00000000557C: D1000004 00BA2510
	v_cmp_u_f32_e64 s[46:47], v69, v69                         // 000000005584: D048002E 00028B45
	v_add3_u32 v16, v69, v19, 1                                // 00000000558C: D1FF0010 02062745
	v_cndmask_b32_e64 v5, v16, v18, s[46:47]                   // 000000005594: D1000005 00BA2510
	v_perm_b32 v58, v5, v4, s52                                // 00000000559C: D1ED003A 00D20905
	v_cmp_u_f32_e64 s[46:47], v70, v70                         // 0000000055A4: D048002E 00028D46
	v_add3_u32 v16, v70, v19, 1                                // 0000000055AC: D1FF0010 02062746
	v_cndmask_b32_e64 v4, v16, v18, s[46:47]                   // 0000000055B4: D1000004 00BA2510
	v_cmp_u_f32_e64 s[46:47], v71, v71                         // 0000000055BC: D048002E 00028F47
	v_add3_u32 v16, v71, v19, 1                                // 0000000055C4: D1FF0010 02062747
	v_cndmask_b32_e64 v5, v16, v18, s[46:47]                   // 0000000055CC: D1000005 00BA2510
	v_perm_b32 v59, v5, v4, s52                                // 0000000055D4: D1ED003B 00D20905
	v_cmp_u_f32_e64 s[46:47], v72, v72                         // 0000000055DC: D048002E 00029148
	v_add3_u32 v16, v72, v19, 1                                // 0000000055E4: D1FF0010 02062748
	v_cndmask_b32_e64 v4, v16, v18, s[46:47]                   // 0000000055EC: D1000004 00BA2510
	v_cmp_u_f32_e64 s[46:47], v73, v73                         // 0000000055F4: D048002E 00029349
	v_add3_u32 v16, v73, v19, 1                                // 0000000055FC: D1FF0010 02062749
	v_cndmask_b32_e64 v5, v16, v18, s[46:47]                   // 000000005604: D1000005 00BA2510
	v_perm_b32 v60, v5, v4, s52                                // 00000000560C: D1ED003C 00D20905
	v_cmp_u_f32_e64 s[46:47], v74, v74                         // 000000005614: D048002E 0002954A
	v_add3_u32 v16, v74, v19, 1                                // 00000000561C: D1FF0010 0206274A
	v_cndmask_b32_e64 v4, v16, v18, s[46:47]                   // 000000005624: D1000004 00BA2510
	v_cmp_u_f32_e64 s[46:47], v75, v75                         // 00000000562C: D048002E 0002974B
	v_add3_u32 v16, v75, v19, 1                                // 000000005634: D1FF0010 0206274B
	v_cndmask_b32_e64 v5, v16, v18, s[46:47]                   // 00000000563C: D1000005 00BA2510
	v_perm_b32 v61, v5, v4, s52                                // 000000005644: D1ED003D 00D20905
	v_cmp_u_f32_e64 s[46:47], v76, v76                         // 00000000564C: D048002E 0002994C
	v_add3_u32 v16, v76, v19, 1                                // 000000005654: D1FF0010 0206274C
	v_cndmask_b32_e64 v4, v16, v18, s[46:47]                   // 00000000565C: D1000004 00BA2510
	v_cmp_u_f32_e64 s[46:47], v77, v77                         // 000000005664: D048002E 00029B4D
	v_add3_u32 v16, v77, v19, 1                                // 00000000566C: D1FF0010 0206274D
	v_cndmask_b32_e64 v5, v16, v18, s[46:47]                   // 000000005674: D1000005 00BA2510
	v_perm_b32 v62, v5, v4, s52                                // 00000000567C: D1ED003E 00D20905
	v_cmp_u_f32_e64 s[46:47], v78, v78                         // 000000005684: D048002E 00029D4E
	v_add3_u32 v16, v78, v19, 1                                // 00000000568C: D1FF0010 0206274E
	v_cndmask_b32_e64 v4, v16, v18, s[46:47]                   // 000000005694: D1000004 00BA2510
	v_cmp_u_f32_e64 s[46:47], v79, v79                         // 00000000569C: D048002E 00029F4F
	v_add3_u32 v16, v79, v19, 1                                // 0000000056A4: D1FF0010 0206274F
	v_cndmask_b32_e64 v5, v16, v18, s[46:47]                   // 0000000056AC: D1000005 00BA2510
	v_perm_b32 v63, v5, v4, s52                                // 0000000056B4: D1ED003F 00D20905
	ds_write_b64 v20, v[48:49]                                 // 0000000056BC: D89A0000 00003014
	ds_write_b64 v20, v[50:51] offset:2176                     // 0000000056C4: D89A0880 00003214
	ds_write_b64 v20, v[52:53] offset:4352                     // 0000000056CC: D89A1100 00003414
	ds_write_b64 v20, v[54:55] offset:6528                     // 0000000056D4: D89A1980 00003614
	ds_write_b64 v20, v[56:57] offset:8704                     // 0000000056DC: D89A2200 00003814
	ds_write_b64 v20, v[58:59] offset:10880                    // 0000000056E4: D89A2A80 00003A14
	ds_write_b64 v20, v[60:61] offset:13056                    // 0000000056EC: D89A3300 00003C14
	ds_write_b64 v20, v[62:63] offset:15232                    // 0000000056F4: D89A3B80 00003E14
	v_lshrrev_b32_e32 v4, 5, v0                                // 0000000056FC: 20080085
	v_xor_b32_e32 v5, 1, v4                                    // 000000005700: 2A0A0881
	s_mul_i32 s60, s65, 2                                      // 000000005704: 923C8241
	s_cmp_eq_u32 s88, 0                                        // 000000005708: BF068058
	s_cselect_b32 s61, 1, 4                                    // 00000000570C: 853D8481
	s_mul_i32 s60, s61, s60                                    // 000000005710: 923C3C3D
	v_readlane_b32 s82, v3, 0                                  // 000000005714: D2890052 00010103
	s_lshr_b32 s61, s82, 24                                    // 00000000571C: 8F3D9852
	s_and_b32 s82, s82, 0xffffff                               // 000000005720: 8652FF52 00FFFFFF
	s_mul_i32 s82, s82, s71                                    // 000000005728: 92524752
	s_mul_i32 s61, s60, s61                                    // 00000000572C: 923D3D3C
	s_add_u32 s82, s82, s61                                    // 000000005730: 80523D52
	v_mul_lo_u32 v6, v5, s82                                   // 000000005734: D2850006 0000A505
	v_readlane_b32 s82, v3, 1                                  // 00000000573C: D2890052 00010303
	s_lshr_b32 s61, s82, 24                                    // 000000005744: 8F3D9852
	s_and_b32 s82, s82, 0xffffff                               // 000000005748: 8652FF52 00FFFFFF
	s_mul_i32 s82, s82, s71                                    // 000000005750: 92524752
	s_mul_i32 s61, s60, s61                                    // 000000005754: 923D3D3C
	s_add_u32 s82, s82, s61                                    // 000000005758: 80523D52
	v_mul_lo_u32 v7, v4, s82                                   // 00000000575C: D2850007 0000A504
	v_add_u32_e32 v35, v6, v7                                  // 000000005764: 68460F06
	v_readlane_b32 s82, v3, 2                                  // 000000005768: D2890052 00010503
	s_lshr_b32 s61, s82, 24                                    // 000000005770: 8F3D9852
	s_and_b32 s82, s82, 0xffffff                               // 000000005774: 8652FF52 00FFFFFF
	s_mul_i32 s82, s82, s71                                    // 00000000577C: 92524752
	s_mul_i32 s61, s60, s61                                    // 000000005780: 923D3D3C
	s_add_u32 s82, s82, s61                                    // 000000005784: 80523D52
	v_mul_lo_u32 v6, v5, s82                                   // 000000005788: D2850006 0000A505
	v_readlane_b32 s82, v3, 3                                  // 000000005790: D2890052 00010703
	s_lshr_b32 s61, s82, 24                                    // 000000005798: 8F3D9852
	s_and_b32 s82, s82, 0xffffff                               // 00000000579C: 8652FF52 00FFFFFF
	s_mul_i32 s82, s82, s71                                    // 0000000057A4: 92524752
	s_mul_i32 s61, s60, s61                                    // 0000000057A8: 923D3D3C
	s_add_u32 s82, s82, s61                                    // 0000000057AC: 80523D52
	v_mul_lo_u32 v7, v4, s82                                   // 0000000057B0: D2850007 0000A504
	v_add_u32_e32 v36, v6, v7                                  // 0000000057B8: 68480F06
	v_and_b32_e32 v4, 31, v0                                   // 0000000057BC: 2608009F
	v_lshrrev_b32_e32 v4, 1, v4                                // 0000000057C0: 20080881
	s_cmp_eq_u32 s88, 0                                        // 0000000057C4: BF068058
	s_cselect_b32 s61, 2, 4                                    // 0000000057C8: 853D8482
	v_mul_lo_u32 v4, v4, s61                                   // 0000000057CC: D2850004 00007B04
	v_and_b32_e64 v5, v0, 1                                    // 0000000057D4: D1130005 00010300
	v_add_u32_e32 v4, v4, v5                                   // 0000000057DC: 68080B04
	v_lshlrev_b32_e32 v4, 2, v4                                // 0000000057E0: 24080882
	v_add_u32_e32 v35, v35, v4                                 // 0000000057E4: 68460923
	v_add_u32_e32 v36, v36, v4                                 // 0000000057E8: 68480924
	s_waitcnt lgkmcnt(0)                                       // 0000000057EC: BF8CC07F
	s_barrier                                                  // 0000000057F0: BF8A0000
	ds_read_b32 v48, v21                                       // 0000000057F4: D86C0000 30000015
	ds_read_b32 v49, v21 offset:64                             // 0000000057FC: D86C0040 31000015
	ds_read_b32 v50, v21 offset:2176                           // 000000005804: D86C0880 32000015
	ds_read_b32 v51, v21 offset:2240                           // 00000000580C: D86C08C0 33000015
	ds_read_b32 v52, v21 offset:4352                           // 000000005814: D86C1100 34000015
	ds_read_b32 v53, v21 offset:4416                           // 00000000581C: D86C1140 35000015
	ds_read_b32 v54, v21 offset:6528                           // 000000005824: D86C1980 36000015
	ds_read_b32 v55, v21 offset:6592                           // 00000000582C: D86C19C0 37000015
	ds_read_b32 v56, v21 offset:8704                           // 000000005834: D86C2200 38000015
	ds_read_b32 v57, v21 offset:8768                           // 00000000583C: D86C2240 39000015
	ds_read_b32 v58, v21 offset:10880                          // 000000005844: D86C2A80 3A000015
	ds_read_b32 v59, v21 offset:10944                          // 00000000584C: D86C2AC0 3B000015
	ds_read_b32 v60, v21 offset:13056                          // 000000005854: D86C3300 3C000015
	ds_read_b32 v61, v21 offset:13120                          // 00000000585C: D86C3340 3D000015
	ds_read_b32 v62, v21 offset:15232                          // 000000005864: D86C3B80 3E000015
	ds_read_b32 v63, v21 offset:15296                          // 00000000586C: D86C3BC0 3F000015
	s_waitcnt lgkmcnt(0)                                       // 000000005874: BF8CC07F
	s_mov_b32 s36, -1                                          // 000000005878: BEA400C1
	s_mov_b32 s37, -1                                          // 00000000587C: BEA500C1
	v_mov_b32_e32 v7, 0                                        // 000000005880: 7E0E0280
	s_or_b32 s9, s9, 0x40000                                   // 000000005884: 8709FF09 00040000
	s_mov_b64 exec, s[36:37]                                   // 00000000588C: BEFE0124
	v_mov_b32_e32 v6, v35                                      // 000000005890: 7E0C0323
	s_mov_b64 s[60:61], 0                                      // 000000005894: BEBC0180
	v_readlane_b32 s82, v3, 0                                  // 000000005898: D2890052 00010103
	s_and_b32 s82, s82, 0xffffff                               // 0000000058A0: 8652FF52 00FFFFFF
	s_cmp_lt_u32 s82, s66                                      // 0000000058A8: BF0A4252
	s_cselect_b32 s20, s36, s60                                // 0000000058AC: 85143C24
	v_readlane_b32 s82, v3, 1                                  // 0000000058B0: D2890052 00010303
	s_and_b32 s82, s82, 0xffffff                               // 0000000058B8: 8652FF52 00FFFFFF
	s_cmp_lt_u32 s82, s66                                      // 0000000058C0: BF0A4252
	s_cselect_b32 s21, s36, s60                                // 0000000058C4: 85153C24
	s_mov_b64 exec, s[20:21]                                   // 0000000058C8: BEFE0114
	buffer_store_dword v48, v6, s[8:11], 0 offen               // 0000000058CC: E0701000 80023006
	buffer_store_dword v50, v6, s[8:11], 0 offen offset:128    // 0000000058D4: E0701080 80023206
	buffer_store_dword v52, v6, s[8:11], 0 offen offset:256    // 0000000058DC: E0701100 80023406
	buffer_store_dword v54, v6, s[8:11], 0 offen offset:384    // 0000000058E4: E0701180 80023606
	buffer_store_dword v56, v6, s[8:11], 0 offen offset:512    // 0000000058EC: E0701200 80023806
	buffer_store_dword v58, v6, s[8:11], 0 offen offset:640    // 0000000058F4: E0701280 80023A06
	buffer_store_dword v60, v6, s[8:11], 0 offen offset:768    // 0000000058FC: E0701300 80023C06
	buffer_store_dword v62, v6, s[8:11], 0 offen offset:896    // 000000005904: E0701380 80023E06
	s_mov_b64 exec, s[36:37]                                   // 00000000590C: BEFE0124
	v_mov_b32_e32 v6, v36                                      // 000000005910: 7E0C0324
	s_mov_b64 s[60:61], 0                                      // 000000005914: BEBC0180
	v_readlane_b32 s82, v3, 2                                  // 000000005918: D2890052 00010503
	s_and_b32 s82, s82, 0xffffff                               // 000000005920: 8652FF52 00FFFFFF
	s_cmp_lt_u32 s82, s66                                      // 000000005928: BF0A4252
	s_cselect_b32 s20, s36, s60                                // 00000000592C: 85143C24
	v_readlane_b32 s82, v3, 3                                  // 000000005930: D2890052 00010703
	s_and_b32 s82, s82, 0xffffff                               // 000000005938: 8652FF52 00FFFFFF
	s_cmp_lt_u32 s82, s66                                      // 000000005940: BF0A4252
	s_cselect_b32 s21, s36, s60                                // 000000005944: 85153C24
	s_mov_b64 exec, s[20:21]                                   // 000000005948: BEFE0114
	buffer_store_dword v49, v6, s[8:11], 0 offen               // 00000000594C: E0701000 80023106
	buffer_store_dword v51, v6, s[8:11], 0 offen offset:128    // 000000005954: E0701080 80023306
	buffer_store_dword v53, v6, s[8:11], 0 offen offset:256    // 00000000595C: E0701100 80023506
	buffer_store_dword v55, v6, s[8:11], 0 offen offset:384    // 000000005964: E0701180 80023706
	buffer_store_dword v57, v6, s[8:11], 0 offen offset:512    // 00000000596C: E0701200 80023906
	buffer_store_dword v59, v6, s[8:11], 0 offen offset:640    // 000000005974: E0701280 80023B06
	buffer_store_dword v61, v6, s[8:11], 0 offen offset:768    // 00000000597C: E0701300 80023D06
	buffer_store_dword v63, v6, s[8:11], 0 offen offset:896    // 000000005984: E0701380 80023F06
	s_mov_b64 exec, s[36:37]                                   // 00000000598C: BEFE0124
	s_branch label_1A08                                        // 000000005990: BF820E20

0000000000005994 <label_0BE5>:
	ds_write_b64 v20, v[48:49]                                 // 000000005994: D89A0000 00003014
	ds_write_b64 v20, v[52:53] offset:2176                     // 00000000599C: D89A0880 00003414
	ds_write_b64 v20, v[56:57] offset:4352                     // 0000000059A4: D89A1100 00003814
	ds_write_b64 v20, v[60:61] offset:6528                     // 0000000059AC: D89A1980 00003C14
	ds_write_b64 v20, v[64:65] offset:8704                     // 0000000059B4: D89A2200 00004014
	ds_write_b64 v20, v[68:69] offset:10880                    // 0000000059BC: D89A2A80 00004414
	ds_write_b64 v20, v[72:73] offset:13056                    // 0000000059C4: D89A3300 00004814
	ds_write_b64 v20, v[76:77] offset:15232                    // 0000000059CC: D89A3B80 00004C14
	v_lshrrev_b32_e32 v4, 5, v0                                // 0000000059D4: 20080085
	v_xor_b32_e32 v5, 1, v4                                    // 0000000059D8: 2A0A0881
	s_mul_i32 s60, s65, 2                                      // 0000000059DC: 923C8241
	s_cmp_eq_u32 s88, 0                                        // 0000000059E0: BF068058
	s_cselect_b32 s61, 1, 4                                    // 0000000059E4: 853D8481
	s_mul_i32 s60, s61, s60                                    // 0000000059E8: 923C3C3D
	v_readlane_b32 s82, v3, 0                                  // 0000000059EC: D2890052 00010103
	s_lshr_b32 s61, s82, 24                                    // 0000000059F4: 8F3D9852
	s_and_b32 s82, s82, 0xffffff                               // 0000000059F8: 8652FF52 00FFFFFF
	s_mul_i32 s82, s82, s71                                    // 000000005A00: 92524752
	s_mul_i32 s61, s60, s61                                    // 000000005A04: 923D3D3C
	s_add_u32 s82, s82, s61                                    // 000000005A08: 80523D52
	v_mul_lo_u32 v6, v5, s82                                   // 000000005A0C: D2850006 0000A505
	v_readlane_b32 s82, v3, 1                                  // 000000005A14: D2890052 00010303
	s_lshr_b32 s61, s82, 24                                    // 000000005A1C: 8F3D9852
	s_and_b32 s82, s82, 0xffffff                               // 000000005A20: 8652FF52 00FFFFFF
	s_mul_i32 s82, s82, s71                                    // 000000005A28: 92524752
	s_mul_i32 s61, s60, s61                                    // 000000005A2C: 923D3D3C
	s_add_u32 s82, s82, s61                                    // 000000005A30: 80523D52
	v_mul_lo_u32 v7, v4, s82                                   // 000000005A34: D2850007 0000A504
	v_add_u32_e32 v35, v6, v7                                  // 000000005A3C: 68460F06
	v_readlane_b32 s82, v3, 2                                  // 000000005A40: D2890052 00010503
	s_lshr_b32 s61, s82, 24                                    // 000000005A48: 8F3D9852
	s_and_b32 s82, s82, 0xffffff                               // 000000005A4C: 8652FF52 00FFFFFF
	s_mul_i32 s82, s82, s71                                    // 000000005A54: 92524752
	s_mul_i32 s61, s60, s61                                    // 000000005A58: 923D3D3C
	s_add_u32 s82, s82, s61                                    // 000000005A5C: 80523D52
	v_mul_lo_u32 v6, v5, s82                                   // 000000005A60: D2850006 0000A505
	v_readlane_b32 s82, v3, 3                                  // 000000005A68: D2890052 00010703
	s_lshr_b32 s61, s82, 24                                    // 000000005A70: 8F3D9852
	s_and_b32 s82, s82, 0xffffff                               // 000000005A74: 8652FF52 00FFFFFF
	s_mul_i32 s82, s82, s71                                    // 000000005A7C: 92524752
	s_mul_i32 s61, s60, s61                                    // 000000005A80: 923D3D3C
	s_add_u32 s82, s82, s61                                    // 000000005A84: 80523D52
	v_mul_lo_u32 v7, v4, s82                                   // 000000005A88: D2850007 0000A504
	v_add_u32_e32 v36, v6, v7                                  // 000000005A90: 68480F06
	v_and_b32_e32 v4, 31, v0                                   // 000000005A94: 2608009F
	v_lshrrev_b32_e32 v4, 1, v4                                // 000000005A98: 20080881
	s_cmp_eq_u32 s88, 0                                        // 000000005A9C: BF068058
	s_cselect_b32 s61, 2, 4                                    // 000000005AA0: 853D8482
	v_mul_lo_u32 v4, v4, s61                                   // 000000005AA4: D2850004 00007B04
	v_and_b32_e64 v5, v0, 1                                    // 000000005AAC: D1130005 00010300
	v_add_u32_e32 v4, v4, v5                                   // 000000005AB4: 68080B04
	v_lshlrev_b32_e32 v4, 2, v4                                // 000000005AB8: 24080882
	v_add_u32_e32 v35, v35, v4                                 // 000000005ABC: 68460923
	v_add_u32_e32 v36, v36, v4                                 // 000000005AC0: 68480924
	s_waitcnt lgkmcnt(0)                                       // 000000005AC4: BF8CC07F
	s_barrier                                                  // 000000005AC8: BF8A0000
	ds_read_b32 v48, v21                                       // 000000005ACC: D86C0000 30000015
	ds_read_b32 v49, v21 offset:64                             // 000000005AD4: D86C0040 31000015
	ds_read_b32 v52, v21 offset:2176                           // 000000005ADC: D86C0880 34000015
	ds_read_b32 v53, v21 offset:2240                           // 000000005AE4: D86C08C0 35000015
	ds_read_b32 v56, v21 offset:4352                           // 000000005AEC: D86C1100 38000015
	ds_read_b32 v57, v21 offset:4416                           // 000000005AF4: D86C1140 39000015
	ds_read_b32 v60, v21 offset:6528                           // 000000005AFC: D86C1980 3C000015
	ds_read_b32 v61, v21 offset:6592                           // 000000005B04: D86C19C0 3D000015
	ds_read_b32 v64, v21 offset:8704                           // 000000005B0C: D86C2200 40000015
	ds_read_b32 v65, v21 offset:8768                           // 000000005B14: D86C2240 41000015
	ds_read_b32 v68, v21 offset:10880                          // 000000005B1C: D86C2A80 44000015
	ds_read_b32 v69, v21 offset:10944                          // 000000005B24: D86C2AC0 45000015
	ds_read_b32 v72, v21 offset:13056                          // 000000005B2C: D86C3300 48000015
	ds_read_b32 v73, v21 offset:13120                          // 000000005B34: D86C3340 49000015
	ds_read_b32 v76, v21 offset:15232                          // 000000005B3C: D86C3B80 4C000015
	ds_read_b32 v77, v21 offset:15296                          // 000000005B44: D86C3BC0 4D000015
	s_waitcnt lgkmcnt(0)                                       // 000000005B4C: BF8CC07F
	s_mov_b32 s36, -1                                          // 000000005B50: BEA400C1
	s_mov_b32 s37, -1                                          // 000000005B54: BEA500C1
	v_mov_b32_e32 v7, 0                                        // 000000005B58: 7E0E0280
	s_mov_b64 exec, s[36:37]                                   // 000000005B5C: BEFE0124
	v_mov_b32_e32 v6, v35                                      // 000000005B60: 7E0C0323
	s_mov_b64 s[60:61], 0                                      // 000000005B64: BEBC0180
	v_readlane_b32 s82, v3, 0                                  // 000000005B68: D2890052 00010103
	s_and_b32 s82, s82, 0xffffff                               // 000000005B70: 8652FF52 00FFFFFF
	s_cmp_lt_u32 s82, s66                                      // 000000005B78: BF0A4252
	s_cselect_b32 s20, s36, s60                                // 000000005B7C: 85143C24
	v_readlane_b32 s82, v3, 1                                  // 000000005B80: D2890052 00010303
	s_and_b32 s82, s82, 0xffffff                               // 000000005B88: 8652FF52 00FFFFFF
	s_cmp_lt_u32 s82, s66                                      // 000000005B90: BF0A4252
	s_cselect_b32 s21, s36, s60                                // 000000005B94: 85153C24
	s_mov_b64 exec, s[20:21]                                   // 000000005B98: BEFE0114
	global_atomic_add_f32 v6, v48, s[8:9]                      // 000000005B9C: DD348000 00083006
	global_atomic_add_f32 v6, v52, s[8:9] offset:256           // 000000005BA4: DD348100 00083406
	global_atomic_add_f32 v6, v56, s[8:9] offset:512           // 000000005BAC: DD348200 00083806
	global_atomic_add_f32 v6, v60, s[8:9] offset:768           // 000000005BB4: DD348300 00083C06
	global_atomic_add_f32 v6, v64, s[8:9] offset:1024          // 000000005BBC: DD348400 00084006
	global_atomic_add_f32 v6, v68, s[8:9] offset:1280          // 000000005BC4: DD348500 00084406
	global_atomic_add_f32 v6, v72, s[8:9] offset:1536          // 000000005BCC: DD348600 00084806
	global_atomic_add_f32 v6, v76, s[8:9] offset:1792          // 000000005BD4: DD348700 00084C06
	s_mov_b64 exec, s[36:37]                                   // 000000005BDC: BEFE0124
	v_mov_b32_e32 v6, v36                                      // 000000005BE0: 7E0C0324
	s_mov_b64 s[60:61], 0                                      // 000000005BE4: BEBC0180
	v_readlane_b32 s82, v3, 2                                  // 000000005BE8: D2890052 00010503
	s_and_b32 s82, s82, 0xffffff                               // 000000005BF0: 8652FF52 00FFFFFF
	s_cmp_lt_u32 s82, s66                                      // 000000005BF8: BF0A4252
	s_cselect_b32 s20, s36, s60                                // 000000005BFC: 85143C24
	v_readlane_b32 s82, v3, 3                                  // 000000005C00: D2890052 00010703
	s_and_b32 s82, s82, 0xffffff                               // 000000005C08: 8652FF52 00FFFFFF
	s_cmp_lt_u32 s82, s66                                      // 000000005C10: BF0A4252
	s_cselect_b32 s21, s36, s60                                // 000000005C14: 85153C24
	s_mov_b64 exec, s[20:21]                                   // 000000005C18: BEFE0114
	global_atomic_add_f32 v6, v49, s[8:9]                      // 000000005C1C: DD348000 00083106
	global_atomic_add_f32 v6, v53, s[8:9] offset:256           // 000000005C24: DD348100 00083506
	global_atomic_add_f32 v6, v57, s[8:9] offset:512           // 000000005C2C: DD348200 00083906
	global_atomic_add_f32 v6, v61, s[8:9] offset:768           // 000000005C34: DD348300 00083D06
	global_atomic_add_f32 v6, v65, s[8:9] offset:1024          // 000000005C3C: DD348400 00084106
	global_atomic_add_f32 v6, v69, s[8:9] offset:1280          // 000000005C44: DD348500 00084506
	global_atomic_add_f32 v6, v73, s[8:9] offset:1536          // 000000005C4C: DD348600 00084906
	global_atomic_add_f32 v6, v77, s[8:9] offset:1792          // 000000005C54: DD348700 00084D06
	s_mov_b64 exec, s[36:37]                                   // 000000005C5C: BEFE0124
	ds_write_b64 v20, v[50:51]                                 // 000000005C60: D89A0000 00003214
	ds_write_b64 v20, v[54:55] offset:2176                     // 000000005C68: D89A0880 00003614
	ds_write_b64 v20, v[58:59] offset:4352                     // 000000005C70: D89A1100 00003A14
	ds_write_b64 v20, v[62:63] offset:6528                     // 000000005C78: D89A1980 00003E14
	ds_write_b64 v20, v[66:67] offset:8704                     // 000000005C80: D89A2200 00004214
	ds_write_b64 v20, v[70:71] offset:10880                    // 000000005C88: D89A2A80 00004614
	ds_write_b64 v20, v[74:75] offset:13056                    // 000000005C90: D89A3300 00004A14
	ds_write_b64 v20, v[78:79] offset:15232                    // 000000005C98: D89A3B80 00004E14
	s_waitcnt lgkmcnt(0)                                       // 000000005CA0: BF8CC07F
	s_barrier                                                  // 000000005CA4: BF8A0000
	ds_read_b32 v50, v21                                       // 000000005CA8: D86C0000 32000015
	ds_read_b32 v51, v21 offset:64                             // 000000005CB0: D86C0040 33000015
	ds_read_b32 v54, v21 offset:2176                           // 000000005CB8: D86C0880 36000015
	ds_read_b32 v55, v21 offset:2240                           // 000000005CC0: D86C08C0 37000015
	ds_read_b32 v58, v21 offset:4352                           // 000000005CC8: D86C1100 3A000015
	ds_read_b32 v59, v21 offset:4416                           // 000000005CD0: D86C1140 3B000015
	ds_read_b32 v62, v21 offset:6528                           // 000000005CD8: D86C1980 3E000015
	ds_read_b32 v63, v21 offset:6592                           // 000000005CE0: D86C19C0 3F000015
	ds_read_b32 v66, v21 offset:8704                           // 000000005CE8: D86C2200 42000015
	ds_read_b32 v67, v21 offset:8768                           // 000000005CF0: D86C2240 43000015
	ds_read_b32 v70, v21 offset:10880                          // 000000005CF8: D86C2A80 46000015
	ds_read_b32 v71, v21 offset:10944                          // 000000005D00: D86C2AC0 47000015
	ds_read_b32 v74, v21 offset:13056                          // 000000005D08: D86C3300 4A000015
	ds_read_b32 v75, v21 offset:13120                          // 000000005D10: D86C3340 4B000015
	ds_read_b32 v78, v21 offset:15232                          // 000000005D18: D86C3B80 4E000015
	ds_read_b32 v79, v21 offset:15296                          // 000000005D20: D86C3BC0 4F000015
	s_waitcnt lgkmcnt(0)                                       // 000000005D28: BF8CC07F
	v_mov_b32_e32 v7, 0                                        // 000000005D2C: 7E0E0280
	s_mov_b64 exec, s[36:37]                                   // 000000005D30: BEFE0124
	v_mov_b32_e32 v6, v35                                      // 000000005D34: 7E0C0323
	s_mov_b64 s[60:61], 0                                      // 000000005D38: BEBC0180
	v_readlane_b32 s82, v3, 0                                  // 000000005D3C: D2890052 00010103
	s_and_b32 s82, s82, 0xffffff                               // 000000005D44: 8652FF52 00FFFFFF
	s_cmp_lt_u32 s82, s66                                      // 000000005D4C: BF0A4252
	s_cselect_b32 s20, s36, s60                                // 000000005D50: 85143C24
	v_readlane_b32 s82, v3, 1                                  // 000000005D54: D2890052 00010303
	s_and_b32 s82, s82, 0xffffff                               // 000000005D5C: 8652FF52 00FFFFFF
	s_cmp_lt_u32 s82, s66                                      // 000000005D64: BF0A4252
	s_cselect_b32 s21, s36, s60                                // 000000005D68: 85153C24
	s_mov_b64 exec, s[20:21]                                   // 000000005D6C: BEFE0114
	global_atomic_add_f32 v6, v50, s[8:9] offset:8             // 000000005D70: DD348008 00083206
	global_atomic_add_f32 v6, v54, s[8:9] offset:264           // 000000005D78: DD348108 00083606
	global_atomic_add_f32 v6, v58, s[8:9] offset:520           // 000000005D80: DD348208 00083A06
	global_atomic_add_f32 v6, v62, s[8:9] offset:776           // 000000005D88: DD348308 00083E06
	global_atomic_add_f32 v6, v66, s[8:9] offset:1032          // 000000005D90: DD348408 00084206
	global_atomic_add_f32 v6, v70, s[8:9] offset:1288          // 000000005D98: DD348508 00084606
	global_atomic_add_f32 v6, v74, s[8:9] offset:1544          // 000000005DA0: DD348608 00084A06
	global_atomic_add_f32 v6, v78, s[8:9] offset:1800          // 000000005DA8: DD348708 00084E06
	s_mov_b64 exec, s[36:37]                                   // 000000005DB0: BEFE0124
	v_mov_b32_e32 v6, v36                                      // 000000005DB4: 7E0C0324
	s_mov_b64 s[60:61], 0                                      // 000000005DB8: BEBC0180
	v_readlane_b32 s82, v3, 2                                  // 000000005DBC: D2890052 00010503
	s_and_b32 s82, s82, 0xffffff                               // 000000005DC4: 8652FF52 00FFFFFF
	s_cmp_lt_u32 s82, s66                                      // 000000005DCC: BF0A4252
	s_cselect_b32 s20, s36, s60                                // 000000005DD0: 85143C24
	v_readlane_b32 s82, v3, 3                                  // 000000005DD4: D2890052 00010703
	s_and_b32 s82, s82, 0xffffff                               // 000000005DDC: 8652FF52 00FFFFFF
	s_cmp_lt_u32 s82, s66                                      // 000000005DE4: BF0A4252
	s_cselect_b32 s21, s36, s60                                // 000000005DE8: 85153C24
	s_mov_b64 exec, s[20:21]                                   // 000000005DEC: BEFE0114
	global_atomic_add_f32 v6, v51, s[8:9] offset:8             // 000000005DF0: DD348008 00083306
	global_atomic_add_f32 v6, v55, s[8:9] offset:264           // 000000005DF8: DD348108 00083706
	global_atomic_add_f32 v6, v59, s[8:9] offset:520           // 000000005E00: DD348208 00083B06
	global_atomic_add_f32 v6, v63, s[8:9] offset:776           // 000000005E08: DD348308 00083F06
	global_atomic_add_f32 v6, v67, s[8:9] offset:1032          // 000000005E10: DD348408 00084306
	global_atomic_add_f32 v6, v71, s[8:9] offset:1288          // 000000005E18: DD348508 00084706
	global_atomic_add_f32 v6, v75, s[8:9] offset:1544          // 000000005E20: DD348608 00084B06
	global_atomic_add_f32 v6, v79, s[8:9] offset:1800          // 000000005E28: DD348708 00084F06
	s_mov_b64 exec, s[36:37]                                   // 000000005E30: BEFE0124
	ds_write_b64 v20, v[80:81]                                 // 000000005E34: D89A0000 00005014
	ds_write_b64 v20, v[84:85] offset:2176                     // 000000005E3C: D89A0880 00005414
	ds_write_b64 v20, v[88:89] offset:4352                     // 000000005E44: D89A1100 00005814
	ds_write_b64 v20, v[92:93] offset:6528                     // 000000005E4C: D89A1980 00005C14
	ds_write_b64 v20, v[96:97] offset:8704                     // 000000005E54: D89A2200 00006014
	ds_write_b64 v20, v[100:101] offset:10880                  // 000000005E5C: D89A2A80 00006414
	ds_write_b64 v20, v[104:105] offset:13056                  // 000000005E64: D89A3300 00006814
	ds_write_b64 v20, v[108:109] offset:15232                  // 000000005E6C: D89A3B80 00006C14
	s_waitcnt lgkmcnt(0)                                       // 000000005E74: BF8CC07F
	s_barrier                                                  // 000000005E78: BF8A0000
	ds_read_b32 v80, v21                                       // 000000005E7C: D86C0000 50000015
	ds_read_b32 v81, v21 offset:64                             // 000000005E84: D86C0040 51000015
	ds_read_b32 v84, v21 offset:2176                           // 000000005E8C: D86C0880 54000015
	ds_read_b32 v85, v21 offset:2240                           // 000000005E94: D86C08C0 55000015
	ds_read_b32 v88, v21 offset:4352                           // 000000005E9C: D86C1100 58000015
	ds_read_b32 v89, v21 offset:4416                           // 000000005EA4: D86C1140 59000015
	ds_read_b32 v92, v21 offset:6528                           // 000000005EAC: D86C1980 5C000015
	ds_read_b32 v93, v21 offset:6592                           // 000000005EB4: D86C19C0 5D000015
	ds_read_b32 v96, v21 offset:8704                           // 000000005EBC: D86C2200 60000015
	ds_read_b32 v97, v21 offset:8768                           // 000000005EC4: D86C2240 61000015
	ds_read_b32 v100, v21 offset:10880                         // 000000005ECC: D86C2A80 64000015
	ds_read_b32 v101, v21 offset:10944                         // 000000005ED4: D86C2AC0 65000015
	ds_read_b32 v104, v21 offset:13056                         // 000000005EDC: D86C3300 68000015
	ds_read_b32 v105, v21 offset:13120                         // 000000005EE4: D86C3340 69000015
	ds_read_b32 v108, v21 offset:15232                         // 000000005EEC: D86C3B80 6C000015
	ds_read_b32 v109, v21 offset:15296                         // 000000005EF4: D86C3BC0 6D000015
	s_mul_i32 s60, s65, 4                                      // 000000005EFC: 923C8441
	s_add_u32 s8, s60, s8                                      // 000000005F00: 8008083C
	s_addc_u32 s9, 0, s9                                       // 000000005F04: 82090980
	s_waitcnt lgkmcnt(0)                                       // 000000005F08: BF8CC07F
	v_mov_b32_e32 v7, 0                                        // 000000005F0C: 7E0E0280
	s_mov_b64 exec, s[36:37]                                   // 000000005F10: BEFE0124
	v_mov_b32_e32 v6, v35                                      // 000000005F14: 7E0C0323
	s_mov_b64 s[60:61], 0                                      // 000000005F18: BEBC0180
	v_readlane_b32 s82, v3, 0                                  // 000000005F1C: D2890052 00010103
	s_and_b32 s82, s82, 0xffffff                               // 000000005F24: 8652FF52 00FFFFFF
	s_cmp_lt_u32 s82, s66                                      // 000000005F2C: BF0A4252
	s_cselect_b32 s20, s36, s60                                // 000000005F30: 85143C24
	v_readlane_b32 s82, v3, 1                                  // 000000005F34: D2890052 00010303
	s_and_b32 s82, s82, 0xffffff                               // 000000005F3C: 8652FF52 00FFFFFF
	s_cmp_lt_u32 s82, s66                                      // 000000005F44: BF0A4252
	s_cselect_b32 s21, s36, s60                                // 000000005F48: 85153C24
	s_mov_b64 exec, s[20:21]                                   // 000000005F4C: BEFE0114
	global_atomic_add_f32 v6, v80, s[8:9]                      // 000000005F50: DD348000 00085006
	global_atomic_add_f32 v6, v84, s[8:9] offset:256           // 000000005F58: DD348100 00085406
	global_atomic_add_f32 v6, v88, s[8:9] offset:512           // 000000005F60: DD348200 00085806
	global_atomic_add_f32 v6, v92, s[8:9] offset:768           // 000000005F68: DD348300 00085C06
	global_atomic_add_f32 v6, v96, s[8:9] offset:1024          // 000000005F70: DD348400 00086006
	global_atomic_add_f32 v6, v100, s[8:9] offset:1280         // 000000005F78: DD348500 00086406
	global_atomic_add_f32 v6, v104, s[8:9] offset:1536         // 000000005F80: DD348600 00086806
	global_atomic_add_f32 v6, v108, s[8:9] offset:1792         // 000000005F88: DD348700 00086C06
	s_mov_b64 exec, s[36:37]                                   // 000000005F90: BEFE0124
	v_mov_b32_e32 v6, v36                                      // 000000005F94: 7E0C0324
	s_mov_b64 s[60:61], 0                                      // 000000005F98: BEBC0180
	v_readlane_b32 s82, v3, 2                                  // 000000005F9C: D2890052 00010503
	s_and_b32 s82, s82, 0xffffff                               // 000000005FA4: 8652FF52 00FFFFFF
	s_cmp_lt_u32 s82, s66                                      // 000000005FAC: BF0A4252
	s_cselect_b32 s20, s36, s60                                // 000000005FB0: 85143C24
	v_readlane_b32 s82, v3, 3                                  // 000000005FB4: D2890052 00010703
	s_and_b32 s82, s82, 0xffffff                               // 000000005FBC: 8652FF52 00FFFFFF
	s_cmp_lt_u32 s82, s66                                      // 000000005FC4: BF0A4252
	s_cselect_b32 s21, s36, s60                                // 000000005FC8: 85153C24
	s_mov_b64 exec, s[20:21]                                   // 000000005FCC: BEFE0114
	global_atomic_add_f32 v6, v81, s[8:9]                      // 000000005FD0: DD348000 00085106
	global_atomic_add_f32 v6, v85, s[8:9] offset:256           // 000000005FD8: DD348100 00085506
	global_atomic_add_f32 v6, v89, s[8:9] offset:512           // 000000005FE0: DD348200 00085906
	global_atomic_add_f32 v6, v93, s[8:9] offset:768           // 000000005FE8: DD348300 00085D06
	global_atomic_add_f32 v6, v97, s[8:9] offset:1024          // 000000005FF0: DD348400 00086106
	global_atomic_add_f32 v6, v101, s[8:9] offset:1280         // 000000005FF8: DD348500 00086506
	global_atomic_add_f32 v6, v105, s[8:9] offset:1536         // 000000006000: DD348600 00086906
	global_atomic_add_f32 v6, v109, s[8:9] offset:1792         // 000000006008: DD348700 00086D06
	s_mov_b64 exec, s[36:37]                                   // 000000006010: BEFE0124
	ds_write_b64 v20, v[82:83]                                 // 000000006014: D89A0000 00005214
	ds_write_b64 v20, v[86:87] offset:2176                     // 00000000601C: D89A0880 00005614
	ds_write_b64 v20, v[90:91] offset:4352                     // 000000006024: D89A1100 00005A14
	ds_write_b64 v20, v[94:95] offset:6528                     // 00000000602C: D89A1980 00005E14
	ds_write_b64 v20, v[98:99] offset:8704                     // 000000006034: D89A2200 00006214
	ds_write_b64 v20, v[102:103] offset:10880                  // 00000000603C: D89A2A80 00006614
	ds_write_b64 v20, v[106:107] offset:13056                  // 000000006044: D89A3300 00006A14
	ds_write_b64 v20, v[110:111] offset:15232                  // 00000000604C: D89A3B80 00006E14
	s_waitcnt lgkmcnt(0)                                       // 000000006054: BF8CC07F
	s_barrier                                                  // 000000006058: BF8A0000
	ds_read_b32 v82, v21                                       // 00000000605C: D86C0000 52000015
	ds_read_b32 v83, v21 offset:64                             // 000000006064: D86C0040 53000015
	ds_read_b32 v86, v21 offset:2176                           // 00000000606C: D86C0880 56000015
	ds_read_b32 v87, v21 offset:2240                           // 000000006074: D86C08C0 57000015
	ds_read_b32 v90, v21 offset:4352                           // 00000000607C: D86C1100 5A000015
	ds_read_b32 v91, v21 offset:4416                           // 000000006084: D86C1140 5B000015
	ds_read_b32 v94, v21 offset:6528                           // 00000000608C: D86C1980 5E000015
	ds_read_b32 v95, v21 offset:6592                           // 000000006094: D86C19C0 5F000015
	ds_read_b32 v98, v21 offset:8704                           // 00000000609C: D86C2200 62000015
	ds_read_b32 v99, v21 offset:8768                           // 0000000060A4: D86C2240 63000015
	ds_read_b32 v102, v21 offset:10880                         // 0000000060AC: D86C2A80 66000015
	ds_read_b32 v103, v21 offset:10944                         // 0000000060B4: D86C2AC0 67000015
	ds_read_b32 v106, v21 offset:13056                         // 0000000060BC: D86C3300 6A000015
	ds_read_b32 v107, v21 offset:13120                         // 0000000060C4: D86C3340 6B000015
	ds_read_b32 v110, v21 offset:15232                         // 0000000060CC: D86C3B80 6E000015
	ds_read_b32 v111, v21 offset:15296                         // 0000000060D4: D86C3BC0 6F000015
	s_waitcnt lgkmcnt(0)                                       // 0000000060DC: BF8CC07F
	v_mov_b32_e32 v7, 0                                        // 0000000060E0: 7E0E0280
	s_mov_b64 exec, s[36:37]                                   // 0000000060E4: BEFE0124
	v_mov_b32_e32 v6, v35                                      // 0000000060E8: 7E0C0323
	s_mov_b64 s[60:61], 0                                      // 0000000060EC: BEBC0180
	v_readlane_b32 s82, v3, 0                                  // 0000000060F0: D2890052 00010103
	s_and_b32 s82, s82, 0xffffff                               // 0000000060F8: 8652FF52 00FFFFFF
	s_cmp_lt_u32 s82, s66                                      // 000000006100: BF0A4252
	s_cselect_b32 s20, s36, s60                                // 000000006104: 85143C24
	v_readlane_b32 s82, v3, 1                                  // 000000006108: D2890052 00010303
	s_and_b32 s82, s82, 0xffffff                               // 000000006110: 8652FF52 00FFFFFF
	s_cmp_lt_u32 s82, s66                                      // 000000006118: BF0A4252
	s_cselect_b32 s21, s36, s60                                // 00000000611C: 85153C24
	s_mov_b64 exec, s[20:21]                                   // 000000006120: BEFE0114
	global_atomic_add_f32 v6, v82, s[8:9] offset:8             // 000000006124: DD348008 00085206
	global_atomic_add_f32 v6, v86, s[8:9] offset:264           // 00000000612C: DD348108 00085606
	global_atomic_add_f32 v6, v90, s[8:9] offset:520           // 000000006134: DD348208 00085A06
	global_atomic_add_f32 v6, v94, s[8:9] offset:776           // 00000000613C: DD348308 00085E06
	global_atomic_add_f32 v6, v98, s[8:9] offset:1032          // 000000006144: DD348408 00086206
	global_atomic_add_f32 v6, v102, s[8:9] offset:1288         // 00000000614C: DD348508 00086606
	global_atomic_add_f32 v6, v106, s[8:9] offset:1544         // 000000006154: DD348608 00086A06
	global_atomic_add_f32 v6, v110, s[8:9] offset:1800         // 00000000615C: DD348708 00086E06
	s_mov_b64 exec, s[36:37]                                   // 000000006164: BEFE0124
	v_mov_b32_e32 v6, v36                                      // 000000006168: 7E0C0324
	s_mov_b64 s[60:61], 0                                      // 00000000616C: BEBC0180
	v_readlane_b32 s82, v3, 2                                  // 000000006170: D2890052 00010503
	s_and_b32 s82, s82, 0xffffff                               // 000000006178: 8652FF52 00FFFFFF
	s_cmp_lt_u32 s82, s66                                      // 000000006180: BF0A4252
	s_cselect_b32 s20, s36, s60                                // 000000006184: 85143C24
	v_readlane_b32 s82, v3, 3                                  // 000000006188: D2890052 00010703
	s_and_b32 s82, s82, 0xffffff                               // 000000006190: 8652FF52 00FFFFFF
	s_cmp_lt_u32 s82, s66                                      // 000000006198: BF0A4252
	s_cselect_b32 s21, s36, s60                                // 00000000619C: 85153C24
	s_mov_b64 exec, s[20:21]                                   // 0000000061A0: BEFE0114
	global_atomic_add_f32 v6, v83, s[8:9] offset:8             // 0000000061A4: DD348008 00085306
	global_atomic_add_f32 v6, v87, s[8:9] offset:264           // 0000000061AC: DD348108 00085706
	global_atomic_add_f32 v6, v91, s[8:9] offset:520           // 0000000061B4: DD348208 00085B06
	global_atomic_add_f32 v6, v95, s[8:9] offset:776           // 0000000061BC: DD348308 00085F06
	global_atomic_add_f32 v6, v99, s[8:9] offset:1032          // 0000000061C4: DD348408 00086306
	global_atomic_add_f32 v6, v103, s[8:9] offset:1288         // 0000000061CC: DD348508 00086706
	global_atomic_add_f32 v6, v107, s[8:9] offset:1544         // 0000000061D4: DD348608 00086B06
	global_atomic_add_f32 v6, v111, s[8:9] offset:1800         // 0000000061DC: DD348708 00086F06
	s_mov_b64 exec, s[36:37]                                   // 0000000061E4: BEFE0124
	s_branch label_1A08                                        // 0000000061E8: BF820C0A

00000000000061ec <label_0DFE>:
	s_waitcnt vmcnt(18) lgkmcnt(0)                             // 0000000061EC: BF8C4072
	v_mfma_f32_16x16x32_fp8_fp8 v[48:51], a[16:17], a[0:1], v[48:51]// 0000000061F0: D3F30030 1CC20110
	buffer_load_dwordx4 a[144:147], v37, s[24:27], 0 offen     // 0000000061F8: E05C1000 80869025
	v_mfma_f32_16x16x32_fp8_fp8 v[48:51], a[18:19], a[2:3], v[48:51]// 000000006200: D3F30030 1CC20512
	v_mfma_f32_16x16x32_fp8_fp8 v[48:51], a[20:21], a[4:5], v[48:51]// 000000006208: D3F30030 1CC20914
	v_mfma_f32_16x16x32_fp8_fp8 v[48:51], a[22:23], a[6:7], v[48:51]// 000000006210: D3F30030 1CC20D16
	v_mfma_f32_16x16x32_fp8_fp8 v[52:55], a[24:25], a[0:1], v[52:55]// 000000006218: D3F30034 1CD20118
	buffer_load_dwordx4 a[148:151], v37, s[24:27], 0 offen offset:1024// 000000006220: E05C1400 80869425
	v_mfma_f32_16x16x32_fp8_fp8 v[52:55], a[26:27], a[2:3], v[52:55]// 000000006228: D3F30034 1CD2051A
	v_mfma_f32_16x16x32_fp8_fp8 v[52:55], a[28:29], a[4:5], v[52:55]// 000000006230: D3F30034 1CD2091C
	v_mfma_f32_16x16x32_fp8_fp8 v[52:55], a[30:31], a[6:7], v[52:55]// 000000006238: D3F30034 1CD20D1E
	v_mfma_f32_16x16x32_fp8_fp8 v[56:59], a[32:33], a[0:1], v[56:59]// 000000006240: D3F30038 1CE20120
	buffer_load_dwordx4 a[152:155], v38, s[24:27], 0 offen     // 000000006248: E05C1000 80869826
	v_mfma_f32_16x16x32_fp8_fp8 v[56:59], a[34:35], a[2:3], v[56:59]// 000000006250: D3F30038 1CE20522
	v_mfma_f32_16x16x32_fp8_fp8 v[56:59], a[36:37], a[4:5], v[56:59]// 000000006258: D3F30038 1CE20924
	v_mfma_f32_16x16x32_fp8_fp8 v[56:59], a[38:39], a[6:7], v[56:59]// 000000006260: D3F30038 1CE20D26
	v_mfma_f32_16x16x32_fp8_fp8 v[60:63], a[40:41], a[0:1], v[60:63]// 000000006268: D3F3003C 1CF20128
	buffer_load_dwordx4 a[156:159], v38, s[24:27], 0 offen offset:1024// 000000006270: E05C1400 80869C26
	v_mfma_f32_16x16x32_fp8_fp8 v[60:63], a[42:43], a[2:3], v[60:63]// 000000006278: D3F3003C 1CF2052A
	v_mfma_f32_16x16x32_fp8_fp8 v[60:63], a[44:45], a[4:5], v[60:63]// 000000006280: D3F3003C 1CF2092C
	v_mfma_f32_16x16x32_fp8_fp8 v[60:63], a[46:47], a[6:7], v[60:63]// 000000006288: D3F3003C 1CF20D2E
	v_mfma_f32_16x16x32_fp8_fp8 v[64:67], a[48:49], a[0:1], v[64:67]// 000000006290: D3F30040 1D020130
	buffer_load_dwordx4 a[160:163], v39, s[24:27], 0 offen     // 000000006298: E05C1000 8086A027
	v_mfma_f32_16x16x32_fp8_fp8 v[64:67], a[50:51], a[2:3], v[64:67]// 0000000062A0: D3F30040 1D020532
	v_mfma_f32_16x16x32_fp8_fp8 v[64:67], a[52:53], a[4:5], v[64:67]// 0000000062A8: D3F30040 1D020934
	v_mfma_f32_16x16x32_fp8_fp8 v[64:67], a[54:55], a[6:7], v[64:67]// 0000000062B0: D3F30040 1D020D36
	v_mfma_f32_16x16x32_fp8_fp8 v[68:71], a[56:57], a[0:1], v[68:71]// 0000000062B8: D3F30044 1D120138
	buffer_load_dwordx4 a[164:167], v39, s[24:27], 0 offen offset:1024// 0000000062C0: E05C1400 8086A427
	v_mfma_f32_16x16x32_fp8_fp8 v[68:71], a[58:59], a[2:3], v[68:71]// 0000000062C8: D3F30044 1D12053A
	v_mfma_f32_16x16x32_fp8_fp8 v[68:71], a[60:61], a[4:5], v[68:71]// 0000000062D0: D3F30044 1D12093C
	v_mfma_f32_16x16x32_fp8_fp8 v[68:71], a[62:63], a[6:7], v[68:71]// 0000000062D8: D3F30044 1D120D3E
	v_mfma_f32_16x16x32_fp8_fp8 v[72:75], a[64:65], a[0:1], v[72:75]// 0000000062E0: D3F30048 1D220140
	buffer_load_dwordx4 a[168:171], v40, s[24:27], 0 offen     // 0000000062E8: E05C1000 8086A828
	v_mfma_f32_16x16x32_fp8_fp8 v[72:75], a[66:67], a[2:3], v[72:75]// 0000000062F0: D3F30048 1D220542
	v_mfma_f32_16x16x32_fp8_fp8 v[72:75], a[68:69], a[4:5], v[72:75]// 0000000062F8: D3F30048 1D220944
	v_mfma_f32_16x16x32_fp8_fp8 v[72:75], a[70:71], a[6:7], v[72:75]// 000000006300: D3F30048 1D220D46
	v_mfma_f32_16x16x32_fp8_fp8 v[76:79], a[72:73], a[0:1], v[76:79]// 000000006308: D3F3004C 1D320148
	buffer_load_dwordx4 a[172:175], v40, s[24:27], 0 offen offset:1024// 000000006310: E05C1400 8086AC28
	v_mfma_f32_16x16x32_fp8_fp8 v[76:79], a[74:75], a[2:3], v[76:79]// 000000006318: D3F3004C 1D32054A
	v_mfma_f32_16x16x32_fp8_fp8 v[76:79], a[76:77], a[4:5], v[76:79]// 000000006320: D3F3004C 1D32094C
	v_mfma_f32_16x16x32_fp8_fp8 v[76:79], a[78:79], a[6:7], v[76:79]// 000000006328: D3F3004C 1D320D4E
	buffer_load_dwordx4 a[176:179], v41, s[24:27], 0 offen     // 000000006330: E05C1000 8086B029
	buffer_load_dwordx4 a[180:183], v41, s[24:27], 0 offen offset:1024// 000000006338: E05C1400 8086B429
	buffer_load_dwordx4 a[184:187], v42, s[24:27], 0 offen     // 000000006340: E05C1000 8086B82A
	buffer_load_dwordx4 a[188:191], v42, s[24:27], 0 offen offset:1024// 000000006348: E05C1400 8086BC2A
	buffer_load_dwordx4 a[192:195], v43, s[24:27], 0 offen     // 000000006350: E05C1000 8086C02B
	buffer_load_dwordx4 a[196:199], v43, s[24:27], 0 offen offset:1024// 000000006358: E05C1400 8086C42B
	buffer_load_dwordx4 a[200:203], v44, s[24:27], 0 offen     // 000000006360: E05C1000 8086C82C
	buffer_load_dwordx4 a[204:207], v44, s[24:27], 0 offen offset:1024// 000000006368: E05C1400 8086CC2C
	buffer_load_dword v35, s[20:23], 0 offen lds               // 000000006370: E0511000 80050023
	s_add_u32 m0, 0x100, s50                                   // 000000006378: 807C32FF 00000100
	buffer_load_dword v36, s[20:23], 0 offen lds               // 000000006380: E0511000 80050024
	s_add_u32 m0, 0, s48                                       // 000000006388: 807C3080
	s_waitcnt vmcnt(18)                                        // 00000000638C: BF8C4F72
	s_barrier                                                  // 000000006390: BF8A0000
	v_mfma_f32_16x16x32_fp8_fp8 v[80:83], a[80:81], a[0:1], v[80:83]// 000000006394: D3F30050 1D420150
	buffer_load_dwordx4 a[16:19], v37, s[84:87], 0 offen       // 00000000639C: E05C1000 80951025
	v_mfma_f32_16x16x32_fp8_fp8 v[80:83], a[82:83], a[2:3], v[80:83]// 0000000063A4: D3F30050 1D420552
	v_mfma_f32_16x16x32_fp8_fp8 v[80:83], a[84:85], a[4:5], v[80:83]// 0000000063AC: D3F30050 1D420954
	ds_read_b128 a[8:11], v2 offset:2176                       // 0000000063B4: DBFE0880 08000002
	ds_read_b128 a[12:15], v2 offset:2240                      // 0000000063BC: DBFE08C0 0C000002
	v_mfma_f32_16x16x32_fp8_fp8 v[80:83], a[86:87], a[6:7], v[80:83]// 0000000063C4: D3F30050 1D420D56
	v_mfma_f32_16x16x32_fp8_fp8 v[84:87], a[88:89], a[0:1], v[84:87]// 0000000063CC: D3F30054 1D520158
	buffer_load_dwordx4 a[20:23], v37, s[84:87], 0 offen offset:1024// 0000000063D4: E05C1400 80951425
	v_mfma_f32_16x16x32_fp8_fp8 v[84:87], a[90:91], a[2:3], v[84:87]// 0000000063DC: D3F30054 1D52055A
	v_mfma_f32_16x16x32_fp8_fp8 v[84:87], a[92:93], a[4:5], v[84:87]// 0000000063E4: D3F30054 1D52095C
	v_mfma_f32_16x16x32_fp8_fp8 v[84:87], a[94:95], a[6:7], v[84:87]// 0000000063EC: D3F30054 1D520D5E
	v_mfma_f32_16x16x32_fp8_fp8 v[88:91], a[96:97], a[0:1], v[88:91]// 0000000063F4: D3F30058 1D620160
	buffer_load_dwordx4 a[24:27], v38, s[84:87], 0 offen       // 0000000063FC: E05C1000 80951826
	v_mfma_f32_16x16x32_fp8_fp8 v[88:91], a[98:99], a[2:3], v[88:91]// 000000006404: D3F30058 1D620562
	v_mfma_f32_16x16x32_fp8_fp8 v[88:91], a[100:101], a[4:5], v[88:91]// 00000000640C: D3F30058 1D620964
	v_mfma_f32_16x16x32_fp8_fp8 v[88:91], a[102:103], a[6:7], v[88:91]// 000000006414: D3F30058 1D620D66
	v_mfma_f32_16x16x32_fp8_fp8 v[92:95], a[104:105], a[0:1], v[92:95]// 00000000641C: D3F3005C 1D720168
	buffer_load_dwordx4 a[28:31], v38, s[84:87], 0 offen offset:1024// 000000006424: E05C1400 80951C26
	v_mfma_f32_16x16x32_fp8_fp8 v[92:95], a[106:107], a[2:3], v[92:95]// 00000000642C: D3F3005C 1D72056A
	v_mfma_f32_16x16x32_fp8_fp8 v[92:95], a[108:109], a[4:5], v[92:95]// 000000006434: D3F3005C 1D72096C
	v_mfma_f32_16x16x32_fp8_fp8 v[92:95], a[110:111], a[6:7], v[92:95]// 00000000643C: D3F3005C 1D720D6E
	v_mfma_f32_16x16x32_fp8_fp8 v[96:99], a[112:113], a[0:1], v[96:99]// 000000006444: D3F30060 1D820170
	buffer_load_dwordx4 a[32:35], v39, s[84:87], 0 offen       // 00000000644C: E05C1000 80952027
	v_mfma_f32_16x16x32_fp8_fp8 v[96:99], a[114:115], a[2:3], v[96:99]// 000000006454: D3F30060 1D820572
	v_mfma_f32_16x16x32_fp8_fp8 v[96:99], a[116:117], a[4:5], v[96:99]// 00000000645C: D3F30060 1D820974
	v_mfma_f32_16x16x32_fp8_fp8 v[96:99], a[118:119], a[6:7], v[96:99]// 000000006464: D3F30060 1D820D76
	v_mfma_f32_16x16x32_fp8_fp8 v[100:103], a[120:121], a[0:1], v[100:103]// 00000000646C: D3F30064 1D920178
	buffer_load_dwordx4 a[36:39], v39, s[84:87], 0 offen offset:1024// 000000006474: E05C1400 80952427
	v_mfma_f32_16x16x32_fp8_fp8 v[100:103], a[122:123], a[2:3], v[100:103]// 00000000647C: D3F30064 1D92057A
	v_mfma_f32_16x16x32_fp8_fp8 v[100:103], a[124:125], a[4:5], v[100:103]// 000000006484: D3F30064 1D92097C
	v_mfma_f32_16x16x32_fp8_fp8 v[100:103], a[126:127], a[6:7], v[100:103]// 00000000648C: D3F30064 1D920D7E
	v_mfma_f32_16x16x32_fp8_fp8 v[104:107], a[128:129], a[0:1], v[104:107]// 000000006494: D3F30068 1DA20180
	buffer_load_dwordx4 a[40:43], v40, s[84:87], 0 offen       // 00000000649C: E05C1000 80952828
	s_add_u32 s60, 0x180, s80                                  // 0000000064A4: 803C50FF 00000180
	s_cmp_lt_u32 s60, s81                                      // 0000000064AC: BF0A513C
	s_cselect_b32 s57, s57, 0                                  // 0000000064B0: 85398039
	v_mfma_f32_16x16x32_fp8_fp8 v[104:107], a[130:131], a[2:3], v[104:107]// 0000000064B4: D3F30068 1DA20582
	s_add_u32 s60, 0x100, s80                                  // 0000000064BC: 803C50FF 00000100
	s_cmp_lt_u32 s60, s81                                      // 0000000064C4: BF0A513C
	s_cselect_b32 s58, s58, 0                                  // 0000000064C8: 853A803A
	v_mfma_f32_16x16x32_fp8_fp8 v[104:107], a[132:133], a[4:5], v[104:107]// 0000000064CC: D3F30068 1DA20984
	s_add_u32 s60, 0x100, s80                                  // 0000000064D4: 803C50FF 00000100
	s_cmp_lt_u32 s60, s81                                      // 0000000064DC: BF0A513C
	s_cselect_b32 s83, s83, 0                                  // 0000000064E0: 85538053
	v_mfma_f32_16x16x32_fp8_fp8 v[104:107], a[134:135], a[6:7], v[104:107]// 0000000064E4: D3F30068 1DA20D86
	s_add_u32 s24, s58, s24                                    // 0000000064EC: 8018183A
	s_addc_u32 s25, 0, s25                                     // 0000000064F0: 82191980
	v_mfma_f32_16x16x32_fp8_fp8 v[108:111], a[136:137], a[0:1], v[108:111]// 0000000064F4: D3F3006C 1DB20188
	buffer_load_dwordx4 a[44:47], v40, s[84:87], 0 offen offset:1024// 0000000064FC: E05C1400 80952C28
	s_add_u32 s20, s57, s20                                    // 000000006504: 80141439
	s_addc_u32 s21, 0, s21                                     // 000000006508: 82151580
	v_mfma_f32_16x16x32_fp8_fp8 v[108:111], a[138:139], a[2:3], v[108:111]// 00000000650C: D3F3006C 1DB2058A
	v_mfma_f32_16x16x32_fp8_fp8 v[108:111], a[140:141], a[4:5], v[108:111]// 000000006514: D3F3006C 1DB2098C
	v_mfma_f32_16x16x32_fp8_fp8 v[108:111], a[142:143], a[6:7], v[108:111]// 00000000651C: D3F3006C 1DB20D8E
	buffer_load_dwordx4 a[48:51], v41, s[84:87], 0 offen       // 000000006524: E05C1000 80953029
	buffer_load_dwordx4 a[52:55], v41, s[84:87], 0 offen offset:1024// 00000000652C: E05C1400 80953429
	buffer_load_dwordx4 a[56:59], v42, s[84:87], 0 offen       // 000000006534: E05C1000 8095382A
	buffer_load_dwordx4 a[60:63], v42, s[84:87], 0 offen offset:1024// 00000000653C: E05C1400 80953C2A
	buffer_load_dwordx4 a[64:67], v43, s[84:87], 0 offen       // 000000006544: E05C1000 8095402B
	buffer_load_dwordx4 a[68:71], v43, s[84:87], 0 offen offset:1024// 00000000654C: E05C1400 8095442B
	buffer_load_dwordx4 a[72:75], v44, s[84:87], 0 offen       // 000000006554: E05C1000 8095482C
	buffer_load_dwordx4 a[76:79], v44, s[84:87], 0 offen offset:1024// 00000000655C: E05C1400 80954C2C
	s_add_u32 s84, s83, s84                                    // 000000006564: 80545453
	s_addc_u32 s85, 0, s85                                     // 000000006568: 82555580
	s_addk_i32 s80, 0x80                                       // 00000000656C: B7500080
	s_cmp_lt_i32 s80, s81                                      // 000000006570: BF045150
	s_cbranch_scc0 label_1351                                  // 000000006574: BF840470
	s_waitcnt vmcnt(18) lgkmcnt(0)                             // 000000006578: BF8C4072
	v_mfma_f32_16x16x32_fp8_fp8 v[48:51], a[144:145], a[8:9], v[48:51]// 00000000657C: D3F30030 1CC21190
	buffer_load_dwordx4 a[80:83], v37, s[24:27], 0 offen       // 000000006584: E05C1000 80865025
	v_mfma_f32_16x16x32_fp8_fp8 v[48:51], a[146:147], a[10:11], v[48:51]// 00000000658C: D3F30030 1CC21592
	v_mfma_f32_16x16x32_fp8_fp8 v[48:51], a[148:149], a[12:13], v[48:51]// 000000006594: D3F30030 1CC21994
	v_mfma_f32_16x16x32_fp8_fp8 v[48:51], a[150:151], a[14:15], v[48:51]// 00000000659C: D3F30030 1CC21D96
	v_mfma_f32_16x16x32_fp8_fp8 v[52:55], a[152:153], a[8:9], v[52:55]// 0000000065A4: D3F30034 1CD21198
	buffer_load_dwordx4 a[84:87], v37, s[24:27], 0 offen offset:1024// 0000000065AC: E05C1400 80865425
	v_mfma_f32_16x16x32_fp8_fp8 v[52:55], a[154:155], a[10:11], v[52:55]// 0000000065B4: D3F30034 1CD2159A
	v_mfma_f32_16x16x32_fp8_fp8 v[52:55], a[156:157], a[12:13], v[52:55]// 0000000065BC: D3F30034 1CD2199C
	v_mfma_f32_16x16x32_fp8_fp8 v[52:55], a[158:159], a[14:15], v[52:55]// 0000000065C4: D3F30034 1CD21D9E
	v_mfma_f32_16x16x32_fp8_fp8 v[56:59], a[160:161], a[8:9], v[56:59]// 0000000065CC: D3F30038 1CE211A0
	buffer_load_dwordx4 a[88:91], v38, s[24:27], 0 offen       // 0000000065D4: E05C1000 80865826
	v_mfma_f32_16x16x32_fp8_fp8 v[56:59], a[162:163], a[10:11], v[56:59]// 0000000065DC: D3F30038 1CE215A2
	v_mfma_f32_16x16x32_fp8_fp8 v[56:59], a[164:165], a[12:13], v[56:59]// 0000000065E4: D3F30038 1CE219A4
	v_mfma_f32_16x16x32_fp8_fp8 v[56:59], a[166:167], a[14:15], v[56:59]// 0000000065EC: D3F30038 1CE21DA6
	v_mfma_f32_16x16x32_fp8_fp8 v[60:63], a[168:169], a[8:9], v[60:63]// 0000000065F4: D3F3003C 1CF211A8
	buffer_load_dwordx4 a[92:95], v38, s[24:27], 0 offen offset:1024// 0000000065FC: E05C1400 80865C26
	v_mfma_f32_16x16x32_fp8_fp8 v[60:63], a[170:171], a[10:11], v[60:63]// 000000006604: D3F3003C 1CF215AA
	v_mfma_f32_16x16x32_fp8_fp8 v[60:63], a[172:173], a[12:13], v[60:63]// 00000000660C: D3F3003C 1CF219AC
	v_mfma_f32_16x16x32_fp8_fp8 v[60:63], a[174:175], a[14:15], v[60:63]// 000000006614: D3F3003C 1CF21DAE
	v_mfma_f32_16x16x32_fp8_fp8 v[64:67], a[176:177], a[8:9], v[64:67]// 00000000661C: D3F30040 1D0211B0
	buffer_load_dwordx4 a[96:99], v39, s[24:27], 0 offen       // 000000006624: E05C1000 80866027
	v_mfma_f32_16x16x32_fp8_fp8 v[64:67], a[178:179], a[10:11], v[64:67]// 00000000662C: D3F30040 1D0215B2
	v_mfma_f32_16x16x32_fp8_fp8 v[64:67], a[180:181], a[12:13], v[64:67]// 000000006634: D3F30040 1D0219B4
	v_mfma_f32_16x16x32_fp8_fp8 v[64:67], a[182:183], a[14:15], v[64:67]// 00000000663C: D3F30040 1D021DB6
	v_mfma_f32_16x16x32_fp8_fp8 v[68:71], a[184:185], a[8:9], v[68:71]// 000000006644: D3F30044 1D1211B8
	buffer_load_dwordx4 a[100:103], v39, s[24:27], 0 offen offset:1024// 00000000664C: E05C1400 80866427
	v_mfma_f32_16x16x32_fp8_fp8 v[68:71], a[186:187], a[10:11], v[68:71]// 000000006654: D3F30044 1D1215BA
	v_mfma_f32_16x16x32_fp8_fp8 v[68:71], a[188:189], a[12:13], v[68:71]// 00000000665C: D3F30044 1D1219BC
	v_mfma_f32_16x16x32_fp8_fp8 v[68:71], a[190:191], a[14:15], v[68:71]// 000000006664: D3F30044 1D121DBE
	v_mfma_f32_16x16x32_fp8_fp8 v[72:75], a[192:193], a[8:9], v[72:75]// 00000000666C: D3F30048 1D2211C0
	buffer_load_dwordx4 a[104:107], v40, s[24:27], 0 offen     // 000000006674: E05C1000 80866828
	v_mfma_f32_16x16x32_fp8_fp8 v[72:75], a[194:195], a[10:11], v[72:75]// 00000000667C: D3F30048 1D2215C2
	v_mfma_f32_16x16x32_fp8_fp8 v[72:75], a[196:197], a[12:13], v[72:75]// 000000006684: D3F30048 1D2219C4
	v_mfma_f32_16x16x32_fp8_fp8 v[72:75], a[198:199], a[14:15], v[72:75]// 00000000668C: D3F30048 1D221DC6
	v_mfma_f32_16x16x32_fp8_fp8 v[76:79], a[200:201], a[8:9], v[76:79]// 000000006694: D3F3004C 1D3211C8
	buffer_load_dwordx4 a[108:111], v40, s[24:27], 0 offen offset:1024// 00000000669C: E05C1400 80866C28
	v_mfma_f32_16x16x32_fp8_fp8 v[76:79], a[202:203], a[10:11], v[76:79]// 0000000066A4: D3F3004C 1D3215CA
	v_mfma_f32_16x16x32_fp8_fp8 v[76:79], a[204:205], a[12:13], v[76:79]// 0000000066AC: D3F3004C 1D3219CC
	v_mfma_f32_16x16x32_fp8_fp8 v[76:79], a[206:207], a[14:15], v[76:79]// 0000000066B4: D3F3004C 1D321DCE
	buffer_load_dwordx4 a[112:115], v41, s[24:27], 0 offen     // 0000000066BC: E05C1000 80867029
	buffer_load_dwordx4 a[116:119], v41, s[24:27], 0 offen offset:1024// 0000000066C4: E05C1400 80867429
	buffer_load_dwordx4 a[120:123], v42, s[24:27], 0 offen     // 0000000066CC: E05C1000 8086782A
	buffer_load_dwordx4 a[124:127], v42, s[24:27], 0 offen offset:1024// 0000000066D4: E05C1400 80867C2A
	buffer_load_dwordx4 a[128:131], v43, s[24:27], 0 offen     // 0000000066DC: E05C1000 8086802B
	buffer_load_dwordx4 a[132:135], v43, s[24:27], 0 offen offset:1024// 0000000066E4: E05C1400 8086842B
	buffer_load_dwordx4 a[136:139], v44, s[24:27], 0 offen     // 0000000066EC: E05C1000 8086882C
	buffer_load_dwordx4 a[140:143], v44, s[24:27], 0 offen offset:1024// 0000000066F4: E05C1400 80868C2C
	buffer_load_dword v35, s[20:23], 0 offen lds               // 0000000066FC: E0511000 80050023
	s_add_u32 m0, 0x100, s48                                   // 000000006704: 807C30FF 00000100
	buffer_load_dword v36, s[20:23], 0 offen lds               // 00000000670C: E0511000 80050024
	s_add_u32 m0, 0, s49                                       // 000000006714: 807C3180
	s_waitcnt vmcnt(18)                                        // 000000006718: BF8C4F72
	s_barrier                                                  // 00000000671C: BF8A0000
	v_mfma_f32_16x16x32_fp8_fp8 v[80:83], a[16:17], a[8:9], v[80:83]// 000000006720: D3F30050 1D421110
	buffer_load_dwordx4 a[144:147], v37, s[84:87], 0 offen     // 000000006728: E05C1000 80959025
	v_mfma_f32_16x16x32_fp8_fp8 v[80:83], a[18:19], a[10:11], v[80:83]// 000000006730: D3F30050 1D421512
	v_mfma_f32_16x16x32_fp8_fp8 v[80:83], a[20:21], a[12:13], v[80:83]// 000000006738: D3F30050 1D421914
	ds_read_b128 a[0:3], v2 offset:4352                        // 000000006740: DBFE1100 00000002
	ds_read_b128 a[4:7], v2 offset:4416                        // 000000006748: DBFE1140 04000002
	v_mfma_f32_16x16x32_fp8_fp8 v[80:83], a[22:23], a[14:15], v[80:83]// 000000006750: D3F30050 1D421D16
	v_mfma_f32_16x16x32_fp8_fp8 v[84:87], a[24:25], a[8:9], v[84:87]// 000000006758: D3F30054 1D521118
	buffer_load_dwordx4 a[148:151], v37, s[84:87], 0 offen offset:1024// 000000006760: E05C1400 80959425
	v_mfma_f32_16x16x32_fp8_fp8 v[84:87], a[26:27], a[10:11], v[84:87]// 000000006768: D3F30054 1D52151A
	v_mfma_f32_16x16x32_fp8_fp8 v[84:87], a[28:29], a[12:13], v[84:87]// 000000006770: D3F30054 1D52191C
	v_mfma_f32_16x16x32_fp8_fp8 v[84:87], a[30:31], a[14:15], v[84:87]// 000000006778: D3F30054 1D521D1E
	v_mfma_f32_16x16x32_fp8_fp8 v[88:91], a[32:33], a[8:9], v[88:91]// 000000006780: D3F30058 1D621120
	buffer_load_dwordx4 a[152:155], v38, s[84:87], 0 offen     // 000000006788: E05C1000 80959826
	v_mfma_f32_16x16x32_fp8_fp8 v[88:91], a[34:35], a[10:11], v[88:91]// 000000006790: D3F30058 1D621522
	v_mfma_f32_16x16x32_fp8_fp8 v[88:91], a[36:37], a[12:13], v[88:91]// 000000006798: D3F30058 1D621924
	v_mfma_f32_16x16x32_fp8_fp8 v[88:91], a[38:39], a[14:15], v[88:91]// 0000000067A0: D3F30058 1D621D26
	v_mfma_f32_16x16x32_fp8_fp8 v[92:95], a[40:41], a[8:9], v[92:95]// 0000000067A8: D3F3005C 1D721128
	buffer_load_dwordx4 a[156:159], v38, s[84:87], 0 offen offset:1024// 0000000067B0: E05C1400 80959C26
	v_mfma_f32_16x16x32_fp8_fp8 v[92:95], a[42:43], a[10:11], v[92:95]// 0000000067B8: D3F3005C 1D72152A
	v_mfma_f32_16x16x32_fp8_fp8 v[92:95], a[44:45], a[12:13], v[92:95]// 0000000067C0: D3F3005C 1D72192C
	v_mfma_f32_16x16x32_fp8_fp8 v[92:95], a[46:47], a[14:15], v[92:95]// 0000000067C8: D3F3005C 1D721D2E
	v_mfma_f32_16x16x32_fp8_fp8 v[96:99], a[48:49], a[8:9], v[96:99]// 0000000067D0: D3F30060 1D821130
	buffer_load_dwordx4 a[160:163], v39, s[84:87], 0 offen     // 0000000067D8: E05C1000 8095A027
	v_mfma_f32_16x16x32_fp8_fp8 v[96:99], a[50:51], a[10:11], v[96:99]// 0000000067E0: D3F30060 1D821532
	v_mfma_f32_16x16x32_fp8_fp8 v[96:99], a[52:53], a[12:13], v[96:99]// 0000000067E8: D3F30060 1D821934
	v_mfma_f32_16x16x32_fp8_fp8 v[96:99], a[54:55], a[14:15], v[96:99]// 0000000067F0: D3F30060 1D821D36
	v_mfma_f32_16x16x32_fp8_fp8 v[100:103], a[56:57], a[8:9], v[100:103]// 0000000067F8: D3F30064 1D921138
	buffer_load_dwordx4 a[164:167], v39, s[84:87], 0 offen offset:1024// 000000006800: E05C1400 8095A427
	v_mfma_f32_16x16x32_fp8_fp8 v[100:103], a[58:59], a[10:11], v[100:103]// 000000006808: D3F30064 1D92153A
	v_mfma_f32_16x16x32_fp8_fp8 v[100:103], a[60:61], a[12:13], v[100:103]// 000000006810: D3F30064 1D92193C
	v_mfma_f32_16x16x32_fp8_fp8 v[100:103], a[62:63], a[14:15], v[100:103]// 000000006818: D3F30064 1D921D3E
	v_mfma_f32_16x16x32_fp8_fp8 v[104:107], a[64:65], a[8:9], v[104:107]// 000000006820: D3F30068 1DA21140
	buffer_load_dwordx4 a[168:171], v40, s[84:87], 0 offen     // 000000006828: E05C1000 8095A828
	s_add_u32 s60, 0x180, s80                                  // 000000006830: 803C50FF 00000180
	s_cmp_lt_u32 s60, s81                                      // 000000006838: BF0A513C
	s_cselect_b32 s57, s57, 0                                  // 00000000683C: 85398039
	v_mfma_f32_16x16x32_fp8_fp8 v[104:107], a[66:67], a[10:11], v[104:107]// 000000006840: D3F30068 1DA21542
	s_add_u32 s60, 0x100, s80                                  // 000000006848: 803C50FF 00000100
	s_cmp_lt_u32 s60, s81                                      // 000000006850: BF0A513C
	s_cselect_b32 s58, s58, 0                                  // 000000006854: 853A803A
	v_mfma_f32_16x16x32_fp8_fp8 v[104:107], a[68:69], a[12:13], v[104:107]// 000000006858: D3F30068 1DA21944
	s_add_u32 s60, 0x100, s80                                  // 000000006860: 803C50FF 00000100
	s_cmp_lt_u32 s60, s81                                      // 000000006868: BF0A513C
	s_cselect_b32 s83, s83, 0                                  // 00000000686C: 85538053
	v_mfma_f32_16x16x32_fp8_fp8 v[104:107], a[70:71], a[14:15], v[104:107]// 000000006870: D3F30068 1DA21D46
	s_add_u32 s24, s58, s24                                    // 000000006878: 8018183A
	s_addc_u32 s25, 0, s25                                     // 00000000687C: 82191980
	v_mfma_f32_16x16x32_fp8_fp8 v[108:111], a[72:73], a[8:9], v[108:111]// 000000006880: D3F3006C 1DB21148
	buffer_load_dwordx4 a[172:175], v40, s[84:87], 0 offen offset:1024// 000000006888: E05C1400 8095AC28
	s_add_u32 s20, s57, s20                                    // 000000006890: 80141439
	s_addc_u32 s21, 0, s21                                     // 000000006894: 82151580
	v_mfma_f32_16x16x32_fp8_fp8 v[108:111], a[74:75], a[10:11], v[108:111]// 000000006898: D3F3006C 1DB2154A
	v_mfma_f32_16x16x32_fp8_fp8 v[108:111], a[76:77], a[12:13], v[108:111]// 0000000068A0: D3F3006C 1DB2194C
	v_mfma_f32_16x16x32_fp8_fp8 v[108:111], a[78:79], a[14:15], v[108:111]// 0000000068A8: D3F3006C 1DB21D4E
	buffer_load_dwordx4 a[176:179], v41, s[84:87], 0 offen     // 0000000068B0: E05C1000 8095B029
	buffer_load_dwordx4 a[180:183], v41, s[84:87], 0 offen offset:1024// 0000000068B8: E05C1400 8095B429
	buffer_load_dwordx4 a[184:187], v42, s[84:87], 0 offen     // 0000000068C0: E05C1000 8095B82A
	buffer_load_dwordx4 a[188:191], v42, s[84:87], 0 offen offset:1024// 0000000068C8: E05C1400 8095BC2A
	buffer_load_dwordx4 a[192:195], v43, s[84:87], 0 offen     // 0000000068D0: E05C1000 8095C02B
	buffer_load_dwordx4 a[196:199], v43, s[84:87], 0 offen offset:1024// 0000000068D8: E05C1400 8095C42B
	buffer_load_dwordx4 a[200:203], v44, s[84:87], 0 offen     // 0000000068E0: E05C1000 8095C82C
	buffer_load_dwordx4 a[204:207], v44, s[84:87], 0 offen offset:1024// 0000000068E8: E05C1400 8095CC2C
	s_add_u32 s84, s83, s84                                    // 0000000068F0: 80545453
	s_addc_u32 s85, 0, s85                                     // 0000000068F4: 82555580
	s_addk_i32 s80, 0x80                                       // 0000000068F8: B7500080
	s_cmp_lt_i32 s80, s81                                      // 0000000068FC: BF045150
	s_cbranch_scc0 label_1351                                  // 000000006900: BF84038D
	s_waitcnt vmcnt(18) lgkmcnt(0)                             // 000000006904: BF8C4072
	v_mfma_f32_16x16x32_fp8_fp8 v[48:51], a[80:81], a[0:1], v[48:51]// 000000006908: D3F30030 1CC20150
	buffer_load_dwordx4 a[16:19], v37, s[24:27], 0 offen       // 000000006910: E05C1000 80861025
	v_mfma_f32_16x16x32_fp8_fp8 v[48:51], a[82:83], a[2:3], v[48:51]// 000000006918: D3F30030 1CC20552
	v_mfma_f32_16x16x32_fp8_fp8 v[48:51], a[84:85], a[4:5], v[48:51]// 000000006920: D3F30030 1CC20954
	v_mfma_f32_16x16x32_fp8_fp8 v[48:51], a[86:87], a[6:7], v[48:51]// 000000006928: D3F30030 1CC20D56
	v_mfma_f32_16x16x32_fp8_fp8 v[52:55], a[88:89], a[0:1], v[52:55]// 000000006930: D3F30034 1CD20158
	buffer_load_dwordx4 a[20:23], v37, s[24:27], 0 offen offset:1024// 000000006938: E05C1400 80861425
	v_mfma_f32_16x16x32_fp8_fp8 v[52:55], a[90:91], a[2:3], v[52:55]// 000000006940: D3F30034 1CD2055A
	v_mfma_f32_16x16x32_fp8_fp8 v[52:55], a[92:93], a[4:5], v[52:55]// 000000006948: D3F30034 1CD2095C
	v_mfma_f32_16x16x32_fp8_fp8 v[52:55], a[94:95], a[6:7], v[52:55]// 000000006950: D3F30034 1CD20D5E
	v_mfma_f32_16x16x32_fp8_fp8 v[56:59], a[96:97], a[0:1], v[56:59]// 000000006958: D3F30038 1CE20160
	buffer_load_dwordx4 a[24:27], v38, s[24:27], 0 offen       // 000000006960: E05C1000 80861826
	v_mfma_f32_16x16x32_fp8_fp8 v[56:59], a[98:99], a[2:3], v[56:59]// 000000006968: D3F30038 1CE20562
	v_mfma_f32_16x16x32_fp8_fp8 v[56:59], a[100:101], a[4:5], v[56:59]// 000000006970: D3F30038 1CE20964
	v_mfma_f32_16x16x32_fp8_fp8 v[56:59], a[102:103], a[6:7], v[56:59]// 000000006978: D3F30038 1CE20D66
	v_mfma_f32_16x16x32_fp8_fp8 v[60:63], a[104:105], a[0:1], v[60:63]// 000000006980: D3F3003C 1CF20168
	buffer_load_dwordx4 a[28:31], v38, s[24:27], 0 offen offset:1024// 000000006988: E05C1400 80861C26
	v_mfma_f32_16x16x32_fp8_fp8 v[60:63], a[106:107], a[2:3], v[60:63]// 000000006990: D3F3003C 1CF2056A
	v_mfma_f32_16x16x32_fp8_fp8 v[60:63], a[108:109], a[4:5], v[60:63]// 000000006998: D3F3003C 1CF2096C
	v_mfma_f32_16x16x32_fp8_fp8 v[60:63], a[110:111], a[6:7], v[60:63]// 0000000069A0: D3F3003C 1CF20D6E
	v_mfma_f32_16x16x32_fp8_fp8 v[64:67], a[112:113], a[0:1], v[64:67]// 0000000069A8: D3F30040 1D020170
	buffer_load_dwordx4 a[32:35], v39, s[24:27], 0 offen       // 0000000069B0: E05C1000 80862027
	v_mfma_f32_16x16x32_fp8_fp8 v[64:67], a[114:115], a[2:3], v[64:67]// 0000000069B8: D3F30040 1D020572
	v_mfma_f32_16x16x32_fp8_fp8 v[64:67], a[116:117], a[4:5], v[64:67]// 0000000069C0: D3F30040 1D020974
	v_mfma_f32_16x16x32_fp8_fp8 v[64:67], a[118:119], a[6:7], v[64:67]// 0000000069C8: D3F30040 1D020D76
	v_mfma_f32_16x16x32_fp8_fp8 v[68:71], a[120:121], a[0:1], v[68:71]// 0000000069D0: D3F30044 1D120178
	buffer_load_dwordx4 a[36:39], v39, s[24:27], 0 offen offset:1024// 0000000069D8: E05C1400 80862427
	v_mfma_f32_16x16x32_fp8_fp8 v[68:71], a[122:123], a[2:3], v[68:71]// 0000000069E0: D3F30044 1D12057A
	v_mfma_f32_16x16x32_fp8_fp8 v[68:71], a[124:125], a[4:5], v[68:71]// 0000000069E8: D3F30044 1D12097C
	v_mfma_f32_16x16x32_fp8_fp8 v[68:71], a[126:127], a[6:7], v[68:71]// 0000000069F0: D3F30044 1D120D7E
	v_mfma_f32_16x16x32_fp8_fp8 v[72:75], a[128:129], a[0:1], v[72:75]// 0000000069F8: D3F30048 1D220180
	buffer_load_dwordx4 a[40:43], v40, s[24:27], 0 offen       // 000000006A00: E05C1000 80862828
	v_mfma_f32_16x16x32_fp8_fp8 v[72:75], a[130:131], a[2:3], v[72:75]// 000000006A08: D3F30048 1D220582
	v_mfma_f32_16x16x32_fp8_fp8 v[72:75], a[132:133], a[4:5], v[72:75]// 000000006A10: D3F30048 1D220984
	v_mfma_f32_16x16x32_fp8_fp8 v[72:75], a[134:135], a[6:7], v[72:75]// 000000006A18: D3F30048 1D220D86
	v_mfma_f32_16x16x32_fp8_fp8 v[76:79], a[136:137], a[0:1], v[76:79]// 000000006A20: D3F3004C 1D320188
	buffer_load_dwordx4 a[44:47], v40, s[24:27], 0 offen offset:1024// 000000006A28: E05C1400 80862C28
	v_mfma_f32_16x16x32_fp8_fp8 v[76:79], a[138:139], a[2:3], v[76:79]// 000000006A30: D3F3004C 1D32058A
	v_mfma_f32_16x16x32_fp8_fp8 v[76:79], a[140:141], a[4:5], v[76:79]// 000000006A38: D3F3004C 1D32098C
	v_mfma_f32_16x16x32_fp8_fp8 v[76:79], a[142:143], a[6:7], v[76:79]// 000000006A40: D3F3004C 1D320D8E
	buffer_load_dwordx4 a[48:51], v41, s[24:27], 0 offen       // 000000006A48: E05C1000 80863029
	buffer_load_dwordx4 a[52:55], v41, s[24:27], 0 offen offset:1024// 000000006A50: E05C1400 80863429
	buffer_load_dwordx4 a[56:59], v42, s[24:27], 0 offen       // 000000006A58: E05C1000 8086382A
	buffer_load_dwordx4 a[60:63], v42, s[24:27], 0 offen offset:1024// 000000006A60: E05C1400 80863C2A
	buffer_load_dwordx4 a[64:67], v43, s[24:27], 0 offen       // 000000006A68: E05C1000 8086402B
	buffer_load_dwordx4 a[68:71], v43, s[24:27], 0 offen offset:1024// 000000006A70: E05C1400 8086442B
	buffer_load_dwordx4 a[72:75], v44, s[24:27], 0 offen       // 000000006A78: E05C1000 8086482C
	buffer_load_dwordx4 a[76:79], v44, s[24:27], 0 offen offset:1024// 000000006A80: E05C1400 80864C2C
	buffer_load_dword v35, s[20:23], 0 offen lds               // 000000006A88: E0511000 80050023
	s_add_u32 m0, 0x100, s49                                   // 000000006A90: 807C31FF 00000100
	buffer_load_dword v36, s[20:23], 0 offen lds               // 000000006A98: E0511000 80050024
	s_add_u32 m0, 0, s50                                       // 000000006AA0: 807C3280
	s_waitcnt vmcnt(18)                                        // 000000006AA4: BF8C4F72
	s_barrier                                                  // 000000006AA8: BF8A0000
	v_mfma_f32_16x16x32_fp8_fp8 v[80:83], a[144:145], a[0:1], v[80:83]// 000000006AAC: D3F30050 1D420190
	buffer_load_dwordx4 a[80:83], v37, s[84:87], 0 offen       // 000000006AB4: E05C1000 80955025
	v_mfma_f32_16x16x32_fp8_fp8 v[80:83], a[146:147], a[2:3], v[80:83]// 000000006ABC: D3F30050 1D420592
	v_mfma_f32_16x16x32_fp8_fp8 v[80:83], a[148:149], a[4:5], v[80:83]// 000000006AC4: D3F30050 1D420994
	ds_read_b128 a[8:11], v2                                   // 000000006ACC: DBFE0000 08000002
	ds_read_b128 a[12:15], v2 offset:64                        // 000000006AD4: DBFE0040 0C000002
	v_mfma_f32_16x16x32_fp8_fp8 v[80:83], a[150:151], a[6:7], v[80:83]// 000000006ADC: D3F30050 1D420D96
	v_mfma_f32_16x16x32_fp8_fp8 v[84:87], a[152:153], a[0:1], v[84:87]// 000000006AE4: D3F30054 1D520198
	buffer_load_dwordx4 a[84:87], v37, s[84:87], 0 offen offset:1024// 000000006AEC: E05C1400 80955425
	v_mfma_f32_16x16x32_fp8_fp8 v[84:87], a[154:155], a[2:3], v[84:87]// 000000006AF4: D3F30054 1D52059A
	v_mfma_f32_16x16x32_fp8_fp8 v[84:87], a[156:157], a[4:5], v[84:87]// 000000006AFC: D3F30054 1D52099C
	v_mfma_f32_16x16x32_fp8_fp8 v[84:87], a[158:159], a[6:7], v[84:87]// 000000006B04: D3F30054 1D520D9E
	v_mfma_f32_16x16x32_fp8_fp8 v[88:91], a[160:161], a[0:1], v[88:91]// 000000006B0C: D3F30058 1D6201A0
	buffer_load_dwordx4 a[88:91], v38, s[84:87], 0 offen       // 000000006B14: E05C1000 80955826
	v_mfma_f32_16x16x32_fp8_fp8 v[88:91], a[162:163], a[2:3], v[88:91]// 000000006B1C: D3F30058 1D6205A2
	v_mfma_f32_16x16x32_fp8_fp8 v[88:91], a[164:165], a[4:5], v[88:91]// 000000006B24: D3F30058 1D6209A4
	v_mfma_f32_16x16x32_fp8_fp8 v[88:91], a[166:167], a[6:7], v[88:91]// 000000006B2C: D3F30058 1D620DA6
	v_mfma_f32_16x16x32_fp8_fp8 v[92:95], a[168:169], a[0:1], v[92:95]// 000000006B34: D3F3005C 1D7201A8
	buffer_load_dwordx4 a[92:95], v38, s[84:87], 0 offen offset:1024// 000000006B3C: E05C1400 80955C26
	v_mfma_f32_16x16x32_fp8_fp8 v[92:95], a[170:171], a[2:3], v[92:95]// 000000006B44: D3F3005C 1D7205AA
	v_mfma_f32_16x16x32_fp8_fp8 v[92:95], a[172:173], a[4:5], v[92:95]// 000000006B4C: D3F3005C 1D7209AC
	v_mfma_f32_16x16x32_fp8_fp8 v[92:95], a[174:175], a[6:7], v[92:95]// 000000006B54: D3F3005C 1D720DAE
	v_mfma_f32_16x16x32_fp8_fp8 v[96:99], a[176:177], a[0:1], v[96:99]// 000000006B5C: D3F30060 1D8201B0
	buffer_load_dwordx4 a[96:99], v39, s[84:87], 0 offen       // 000000006B64: E05C1000 80956027
	v_mfma_f32_16x16x32_fp8_fp8 v[96:99], a[178:179], a[2:3], v[96:99]// 000000006B6C: D3F30060 1D8205B2
	v_mfma_f32_16x16x32_fp8_fp8 v[96:99], a[180:181], a[4:5], v[96:99]// 000000006B74: D3F30060 1D8209B4
	v_mfma_f32_16x16x32_fp8_fp8 v[96:99], a[182:183], a[6:7], v[96:99]// 000000006B7C: D3F30060 1D820DB6
	v_mfma_f32_16x16x32_fp8_fp8 v[100:103], a[184:185], a[0:1], v[100:103]// 000000006B84: D3F30064 1D9201B8
	buffer_load_dwordx4 a[100:103], v39, s[84:87], 0 offen offset:1024// 000000006B8C: E05C1400 80956427
	v_mfma_f32_16x16x32_fp8_fp8 v[100:103], a[186:187], a[2:3], v[100:103]// 000000006B94: D3F30064 1D9205BA
	v_mfma_f32_16x16x32_fp8_fp8 v[100:103], a[188:189], a[4:5], v[100:103]// 000000006B9C: D3F30064 1D9209BC
	v_mfma_f32_16x16x32_fp8_fp8 v[100:103], a[190:191], a[6:7], v[100:103]// 000000006BA4: D3F30064 1D920DBE
	v_mfma_f32_16x16x32_fp8_fp8 v[104:107], a[192:193], a[0:1], v[104:107]// 000000006BAC: D3F30068 1DA201C0
	buffer_load_dwordx4 a[104:107], v40, s[84:87], 0 offen     // 000000006BB4: E05C1000 80956828
	s_add_u32 s60, 0x180, s80                                  // 000000006BBC: 803C50FF 00000180
	s_cmp_lt_u32 s60, s81                                      // 000000006BC4: BF0A513C
	s_cselect_b32 s57, s57, 0                                  // 000000006BC8: 85398039
	v_mfma_f32_16x16x32_fp8_fp8 v[104:107], a[194:195], a[2:3], v[104:107]// 000000006BCC: D3F30068 1DA205C2
	s_add_u32 s60, 0x100, s80                                  // 000000006BD4: 803C50FF 00000100
	s_cmp_lt_u32 s60, s81                                      // 000000006BDC: BF0A513C
	s_cselect_b32 s58, s58, 0                                  // 000000006BE0: 853A803A
	v_mfma_f32_16x16x32_fp8_fp8 v[104:107], a[196:197], a[4:5], v[104:107]// 000000006BE4: D3F30068 1DA209C4
	s_add_u32 s60, 0x100, s80                                  // 000000006BEC: 803C50FF 00000100
	s_cmp_lt_u32 s60, s81                                      // 000000006BF4: BF0A513C
	s_cselect_b32 s83, s83, 0                                  // 000000006BF8: 85538053
	v_mfma_f32_16x16x32_fp8_fp8 v[104:107], a[198:199], a[6:7], v[104:107]// 000000006BFC: D3F30068 1DA20DC6
	s_add_u32 s24, s58, s24                                    // 000000006C04: 8018183A
	s_addc_u32 s25, 0, s25                                     // 000000006C08: 82191980
	v_mfma_f32_16x16x32_fp8_fp8 v[108:111], a[200:201], a[0:1], v[108:111]// 000000006C0C: D3F3006C 1DB201C8
	buffer_load_dwordx4 a[108:111], v40, s[84:87], 0 offen offset:1024// 000000006C14: E05C1400 80956C28
	s_add_u32 s20, s57, s20                                    // 000000006C1C: 80141439
	s_addc_u32 s21, 0, s21                                     // 000000006C20: 82151580
	v_mfma_f32_16x16x32_fp8_fp8 v[108:111], a[202:203], a[2:3], v[108:111]// 000000006C24: D3F3006C 1DB205CA
	v_mfma_f32_16x16x32_fp8_fp8 v[108:111], a[204:205], a[4:5], v[108:111]// 000000006C2C: D3F3006C 1DB209CC
	v_mfma_f32_16x16x32_fp8_fp8 v[108:111], a[206:207], a[6:7], v[108:111]// 000000006C34: D3F3006C 1DB20DCE
	buffer_load_dwordx4 a[112:115], v41, s[84:87], 0 offen     // 000000006C3C: E05C1000 80957029
	buffer_load_dwordx4 a[116:119], v41, s[84:87], 0 offen offset:1024// 000000006C44: E05C1400 80957429
	buffer_load_dwordx4 a[120:123], v42, s[84:87], 0 offen     // 000000006C4C: E05C1000 8095782A
	buffer_load_dwordx4 a[124:127], v42, s[84:87], 0 offen offset:1024// 000000006C54: E05C1400 80957C2A
	buffer_load_dwordx4 a[128:131], v43, s[84:87], 0 offen     // 000000006C5C: E05C1000 8095802B
	buffer_load_dwordx4 a[132:135], v43, s[84:87], 0 offen offset:1024// 000000006C64: E05C1400 8095842B
	buffer_load_dwordx4 a[136:139], v44, s[84:87], 0 offen     // 000000006C6C: E05C1000 8095882C
	buffer_load_dwordx4 a[140:143], v44, s[84:87], 0 offen offset:1024// 000000006C74: E05C1400 80958C2C
	s_add_u32 s84, s83, s84                                    // 000000006C7C: 80545453
	s_addc_u32 s85, 0, s85                                     // 000000006C80: 82555580
	s_addk_i32 s80, 0x80                                       // 000000006C84: B7500080
	s_cmp_lt_i32 s80, s81                                      // 000000006C88: BF045150
	s_cbranch_scc0 label_1351                                  // 000000006C8C: BF8402AA
	s_waitcnt vmcnt(18) lgkmcnt(0)                             // 000000006C90: BF8C4072
	v_mfma_f32_16x16x32_fp8_fp8 v[48:51], a[16:17], a[8:9], v[48:51]// 000000006C94: D3F30030 1CC21110
	buffer_load_dwordx4 a[144:147], v37, s[24:27], 0 offen     // 000000006C9C: E05C1000 80869025
	v_mfma_f32_16x16x32_fp8_fp8 v[48:51], a[18:19], a[10:11], v[48:51]// 000000006CA4: D3F30030 1CC21512
	v_mfma_f32_16x16x32_fp8_fp8 v[48:51], a[20:21], a[12:13], v[48:51]// 000000006CAC: D3F30030 1CC21914
	v_mfma_f32_16x16x32_fp8_fp8 v[48:51], a[22:23], a[14:15], v[48:51]// 000000006CB4: D3F30030 1CC21D16
	v_mfma_f32_16x16x32_fp8_fp8 v[52:55], a[24:25], a[8:9], v[52:55]// 000000006CBC: D3F30034 1CD21118
	buffer_load_dwordx4 a[148:151], v37, s[24:27], 0 offen offset:1024// 000000006CC4: E05C1400 80869425
	v_mfma_f32_16x16x32_fp8_fp8 v[52:55], a[26:27], a[10:11], v[52:55]// 000000006CCC: D3F30034 1CD2151A
	v_mfma_f32_16x16x32_fp8_fp8 v[52:55], a[28:29], a[12:13], v[52:55]// 000000006CD4: D3F30034 1CD2191C
	v_mfma_f32_16x16x32_fp8_fp8 v[52:55], a[30:31], a[14:15], v[52:55]// 000000006CDC: D3F30034 1CD21D1E
	v_mfma_f32_16x16x32_fp8_fp8 v[56:59], a[32:33], a[8:9], v[56:59]// 000000006CE4: D3F30038 1CE21120
	buffer_load_dwordx4 a[152:155], v38, s[24:27], 0 offen     // 000000006CEC: E05C1000 80869826
	v_mfma_f32_16x16x32_fp8_fp8 v[56:59], a[34:35], a[10:11], v[56:59]// 000000006CF4: D3F30038 1CE21522
	v_mfma_f32_16x16x32_fp8_fp8 v[56:59], a[36:37], a[12:13], v[56:59]// 000000006CFC: D3F30038 1CE21924
	v_mfma_f32_16x16x32_fp8_fp8 v[56:59], a[38:39], a[14:15], v[56:59]// 000000006D04: D3F30038 1CE21D26
	v_mfma_f32_16x16x32_fp8_fp8 v[60:63], a[40:41], a[8:9], v[60:63]// 000000006D0C: D3F3003C 1CF21128
	buffer_load_dwordx4 a[156:159], v38, s[24:27], 0 offen offset:1024// 000000006D14: E05C1400 80869C26
	v_mfma_f32_16x16x32_fp8_fp8 v[60:63], a[42:43], a[10:11], v[60:63]// 000000006D1C: D3F3003C 1CF2152A
	v_mfma_f32_16x16x32_fp8_fp8 v[60:63], a[44:45], a[12:13], v[60:63]// 000000006D24: D3F3003C 1CF2192C
	v_mfma_f32_16x16x32_fp8_fp8 v[60:63], a[46:47], a[14:15], v[60:63]// 000000006D2C: D3F3003C 1CF21D2E
	v_mfma_f32_16x16x32_fp8_fp8 v[64:67], a[48:49], a[8:9], v[64:67]// 000000006D34: D3F30040 1D021130
	buffer_load_dwordx4 a[160:163], v39, s[24:27], 0 offen     // 000000006D3C: E05C1000 8086A027
	v_mfma_f32_16x16x32_fp8_fp8 v[64:67], a[50:51], a[10:11], v[64:67]// 000000006D44: D3F30040 1D021532
	v_mfma_f32_16x16x32_fp8_fp8 v[64:67], a[52:53], a[12:13], v[64:67]// 000000006D4C: D3F30040 1D021934
	v_mfma_f32_16x16x32_fp8_fp8 v[64:67], a[54:55], a[14:15], v[64:67]// 000000006D54: D3F30040 1D021D36
	v_mfma_f32_16x16x32_fp8_fp8 v[68:71], a[56:57], a[8:9], v[68:71]// 000000006D5C: D3F30044 1D121138
	buffer_load_dwordx4 a[164:167], v39, s[24:27], 0 offen offset:1024// 000000006D64: E05C1400 8086A427
	v_mfma_f32_16x16x32_fp8_fp8 v[68:71], a[58:59], a[10:11], v[68:71]// 000000006D6C: D3F30044 1D12153A
	v_mfma_f32_16x16x32_fp8_fp8 v[68:71], a[60:61], a[12:13], v[68:71]// 000000006D74: D3F30044 1D12193C
	v_mfma_f32_16x16x32_fp8_fp8 v[68:71], a[62:63], a[14:15], v[68:71]// 000000006D7C: D3F30044 1D121D3E
	v_mfma_f32_16x16x32_fp8_fp8 v[72:75], a[64:65], a[8:9], v[72:75]// 000000006D84: D3F30048 1D221140
	buffer_load_dwordx4 a[168:171], v40, s[24:27], 0 offen     // 000000006D8C: E05C1000 8086A828
	v_mfma_f32_16x16x32_fp8_fp8 v[72:75], a[66:67], a[10:11], v[72:75]// 000000006D94: D3F30048 1D221542
	v_mfma_f32_16x16x32_fp8_fp8 v[72:75], a[68:69], a[12:13], v[72:75]// 000000006D9C: D3F30048 1D221944
	v_mfma_f32_16x16x32_fp8_fp8 v[72:75], a[70:71], a[14:15], v[72:75]// 000000006DA4: D3F30048 1D221D46
	v_mfma_f32_16x16x32_fp8_fp8 v[76:79], a[72:73], a[8:9], v[76:79]// 000000006DAC: D3F3004C 1D321148
	buffer_load_dwordx4 a[172:175], v40, s[24:27], 0 offen offset:1024// 000000006DB4: E05C1400 8086AC28
	v_mfma_f32_16x16x32_fp8_fp8 v[76:79], a[74:75], a[10:11], v[76:79]// 000000006DBC: D3F3004C 1D32154A
	v_mfma_f32_16x16x32_fp8_fp8 v[76:79], a[76:77], a[12:13], v[76:79]// 000000006DC4: D3F3004C 1D32194C
	v_mfma_f32_16x16x32_fp8_fp8 v[76:79], a[78:79], a[14:15], v[76:79]// 000000006DCC: D3F3004C 1D321D4E
	buffer_load_dwordx4 a[176:179], v41, s[24:27], 0 offen     // 000000006DD4: E05C1000 8086B029
	buffer_load_dwordx4 a[180:183], v41, s[24:27], 0 offen offset:1024// 000000006DDC: E05C1400 8086B429
	buffer_load_dwordx4 a[184:187], v42, s[24:27], 0 offen     // 000000006DE4: E05C1000 8086B82A
	buffer_load_dwordx4 a[188:191], v42, s[24:27], 0 offen offset:1024// 000000006DEC: E05C1400 8086BC2A
	buffer_load_dwordx4 a[192:195], v43, s[24:27], 0 offen     // 000000006DF4: E05C1000 8086C02B
	buffer_load_dwordx4 a[196:199], v43, s[24:27], 0 offen offset:1024// 000000006DFC: E05C1400 8086C42B
	buffer_load_dwordx4 a[200:203], v44, s[24:27], 0 offen     // 000000006E04: E05C1000 8086C82C
	buffer_load_dwordx4 a[204:207], v44, s[24:27], 0 offen offset:1024// 000000006E0C: E05C1400 8086CC2C
	buffer_load_dword v35, s[20:23], 0 offen lds               // 000000006E14: E0511000 80050023
	s_add_u32 m0, 0x100, s50                                   // 000000006E1C: 807C32FF 00000100
	buffer_load_dword v36, s[20:23], 0 offen lds               // 000000006E24: E0511000 80050024
	s_add_u32 m0, 0, s48                                       // 000000006E2C: 807C3080
	s_waitcnt vmcnt(18)                                        // 000000006E30: BF8C4F72
	s_barrier                                                  // 000000006E34: BF8A0000
	v_mfma_f32_16x16x32_fp8_fp8 v[80:83], a[80:81], a[8:9], v[80:83]// 000000006E38: D3F30050 1D421150
	buffer_load_dwordx4 a[16:19], v37, s[84:87], 0 offen       // 000000006E40: E05C1000 80951025
	v_mfma_f32_16x16x32_fp8_fp8 v[80:83], a[82:83], a[10:11], v[80:83]// 000000006E48: D3F30050 1D421552
	v_mfma_f32_16x16x32_fp8_fp8 v[80:83], a[84:85], a[12:13], v[80:83]// 000000006E50: D3F30050 1D421954
	ds_read_b128 a[0:3], v2 offset:2176                        // 000000006E58: DBFE0880 00000002
	ds_read_b128 a[4:7], v2 offset:2240                        // 000000006E60: DBFE08C0 04000002
	v_mfma_f32_16x16x32_fp8_fp8 v[80:83], a[86:87], a[14:15], v[80:83]// 000000006E68: D3F30050 1D421D56
	v_mfma_f32_16x16x32_fp8_fp8 v[84:87], a[88:89], a[8:9], v[84:87]// 000000006E70: D3F30054 1D521158
	buffer_load_dwordx4 a[20:23], v37, s[84:87], 0 offen offset:1024// 000000006E78: E05C1400 80951425
	v_mfma_f32_16x16x32_fp8_fp8 v[84:87], a[90:91], a[10:11], v[84:87]// 000000006E80: D3F30054 1D52155A
	v_mfma_f32_16x16x32_fp8_fp8 v[84:87], a[92:93], a[12:13], v[84:87]// 000000006E88: D3F30054 1D52195C
	v_mfma_f32_16x16x32_fp8_fp8 v[84:87], a[94:95], a[14:15], v[84:87]// 000000006E90: D3F30054 1D521D5E
	v_mfma_f32_16x16x32_fp8_fp8 v[88:91], a[96:97], a[8:9], v[88:91]// 000000006E98: D3F30058 1D621160
	buffer_load_dwordx4 a[24:27], v38, s[84:87], 0 offen       // 000000006EA0: E05C1000 80951826
	v_mfma_f32_16x16x32_fp8_fp8 v[88:91], a[98:99], a[10:11], v[88:91]// 000000006EA8: D3F30058 1D621562
	v_mfma_f32_16x16x32_fp8_fp8 v[88:91], a[100:101], a[12:13], v[88:91]// 000000006EB0: D3F30058 1D621964
	v_mfma_f32_16x16x32_fp8_fp8 v[88:91], a[102:103], a[14:15], v[88:91]// 000000006EB8: D3F30058 1D621D66
	v_mfma_f32_16x16x32_fp8_fp8 v[92:95], a[104:105], a[8:9], v[92:95]// 000000006EC0: D3F3005C 1D721168
	buffer_load_dwordx4 a[28:31], v38, s[84:87], 0 offen offset:1024// 000000006EC8: E05C1400 80951C26
	v_mfma_f32_16x16x32_fp8_fp8 v[92:95], a[106:107], a[10:11], v[92:95]// 000000006ED0: D3F3005C 1D72156A
	v_mfma_f32_16x16x32_fp8_fp8 v[92:95], a[108:109], a[12:13], v[92:95]// 000000006ED8: D3F3005C 1D72196C
	v_mfma_f32_16x16x32_fp8_fp8 v[92:95], a[110:111], a[14:15], v[92:95]// 000000006EE0: D3F3005C 1D721D6E
	v_mfma_f32_16x16x32_fp8_fp8 v[96:99], a[112:113], a[8:9], v[96:99]// 000000006EE8: D3F30060 1D821170
	buffer_load_dwordx4 a[32:35], v39, s[84:87], 0 offen       // 000000006EF0: E05C1000 80952027
	v_mfma_f32_16x16x32_fp8_fp8 v[96:99], a[114:115], a[10:11], v[96:99]// 000000006EF8: D3F30060 1D821572
	v_mfma_f32_16x16x32_fp8_fp8 v[96:99], a[116:117], a[12:13], v[96:99]// 000000006F00: D3F30060 1D821974
	v_mfma_f32_16x16x32_fp8_fp8 v[96:99], a[118:119], a[14:15], v[96:99]// 000000006F08: D3F30060 1D821D76
	v_mfma_f32_16x16x32_fp8_fp8 v[100:103], a[120:121], a[8:9], v[100:103]// 000000006F10: D3F30064 1D921178
	buffer_load_dwordx4 a[36:39], v39, s[84:87], 0 offen offset:1024// 000000006F18: E05C1400 80952427
	v_mfma_f32_16x16x32_fp8_fp8 v[100:103], a[122:123], a[10:11], v[100:103]// 000000006F20: D3F30064 1D92157A
	v_mfma_f32_16x16x32_fp8_fp8 v[100:103], a[124:125], a[12:13], v[100:103]// 000000006F28: D3F30064 1D92197C
	v_mfma_f32_16x16x32_fp8_fp8 v[100:103], a[126:127], a[14:15], v[100:103]// 000000006F30: D3F30064 1D921D7E
	v_mfma_f32_16x16x32_fp8_fp8 v[104:107], a[128:129], a[8:9], v[104:107]// 000000006F38: D3F30068 1DA21180
	buffer_load_dwordx4 a[40:43], v40, s[84:87], 0 offen       // 000000006F40: E05C1000 80952828
	s_add_u32 s60, 0x180, s80                                  // 000000006F48: 803C50FF 00000180
	s_cmp_lt_u32 s60, s81                                      // 000000006F50: BF0A513C
	s_cselect_b32 s57, s57, 0                                  // 000000006F54: 85398039
	v_mfma_f32_16x16x32_fp8_fp8 v[104:107], a[130:131], a[10:11], v[104:107]// 000000006F58: D3F30068 1DA21582
	s_add_u32 s60, 0x100, s80                                  // 000000006F60: 803C50FF 00000100
	s_cmp_lt_u32 s60, s81                                      // 000000006F68: BF0A513C
	s_cselect_b32 s58, s58, 0                                  // 000000006F6C: 853A803A
	v_mfma_f32_16x16x32_fp8_fp8 v[104:107], a[132:133], a[12:13], v[104:107]// 000000006F70: D3F30068 1DA21984
	s_add_u32 s60, 0x100, s80                                  // 000000006F78: 803C50FF 00000100
	s_cmp_lt_u32 s60, s81                                      // 000000006F80: BF0A513C
	s_cselect_b32 s83, s83, 0                                  // 000000006F84: 85538053
	v_mfma_f32_16x16x32_fp8_fp8 v[104:107], a[134:135], a[14:15], v[104:107]// 000000006F88: D3F30068 1DA21D86
	s_add_u32 s24, s58, s24                                    // 000000006F90: 8018183A
	s_addc_u32 s25, 0, s25                                     // 000000006F94: 82191980
	v_mfma_f32_16x16x32_fp8_fp8 v[108:111], a[136:137], a[8:9], v[108:111]// 000000006F98: D3F3006C 1DB21188
	buffer_load_dwordx4 a[44:47], v40, s[84:87], 0 offen offset:1024// 000000006FA0: E05C1400 80952C28
	s_add_u32 s20, s57, s20                                    // 000000006FA8: 80141439
	s_addc_u32 s21, 0, s21                                     // 000000006FAC: 82151580
	v_mfma_f32_16x16x32_fp8_fp8 v[108:111], a[138:139], a[10:11], v[108:111]// 000000006FB0: D3F3006C 1DB2158A
	v_mfma_f32_16x16x32_fp8_fp8 v[108:111], a[140:141], a[12:13], v[108:111]// 000000006FB8: D3F3006C 1DB2198C
	v_mfma_f32_16x16x32_fp8_fp8 v[108:111], a[142:143], a[14:15], v[108:111]// 000000006FC0: D3F3006C 1DB21D8E
	buffer_load_dwordx4 a[48:51], v41, s[84:87], 0 offen       // 000000006FC8: E05C1000 80953029
	buffer_load_dwordx4 a[52:55], v41, s[84:87], 0 offen offset:1024// 000000006FD0: E05C1400 80953429
	buffer_load_dwordx4 a[56:59], v42, s[84:87], 0 offen       // 000000006FD8: E05C1000 8095382A
	buffer_load_dwordx4 a[60:63], v42, s[84:87], 0 offen offset:1024// 000000006FE0: E05C1400 80953C2A
	buffer_load_dwordx4 a[64:67], v43, s[84:87], 0 offen       // 000000006FE8: E05C1000 8095402B
	buffer_load_dwordx4 a[68:71], v43, s[84:87], 0 offen offset:1024// 000000006FF0: E05C1400 8095442B
	buffer_load_dwordx4 a[72:75], v44, s[84:87], 0 offen       // 000000006FF8: E05C1000 8095482C
	buffer_load_dwordx4 a[76:79], v44, s[84:87], 0 offen offset:1024// 000000007000: E05C1400 80954C2C
	s_add_u32 s84, s83, s84                                    // 000000007008: 80545453
	s_addc_u32 s85, 0, s85                                     // 00000000700C: 82555580
	s_addk_i32 s80, 0x80                                       // 000000007010: B7500080
	s_cmp_lt_i32 s80, s81                                      // 000000007014: BF045150
	s_cbranch_scc0 label_1351                                  // 000000007018: BF8401C7
	s_waitcnt vmcnt(18) lgkmcnt(0)                             // 00000000701C: BF8C4072
	v_mfma_f32_16x16x32_fp8_fp8 v[48:51], a[144:145], a[0:1], v[48:51]// 000000007020: D3F30030 1CC20190
	buffer_load_dwordx4 a[80:83], v37, s[24:27], 0 offen       // 000000007028: E05C1000 80865025
	v_mfma_f32_16x16x32_fp8_fp8 v[48:51], a[146:147], a[2:3], v[48:51]// 000000007030: D3F30030 1CC20592
	v_mfma_f32_16x16x32_fp8_fp8 v[48:51], a[148:149], a[4:5], v[48:51]// 000000007038: D3F30030 1CC20994
	v_mfma_f32_16x16x32_fp8_fp8 v[48:51], a[150:151], a[6:7], v[48:51]// 000000007040: D3F30030 1CC20D96
	v_mfma_f32_16x16x32_fp8_fp8 v[52:55], a[152:153], a[0:1], v[52:55]// 000000007048: D3F30034 1CD20198
	buffer_load_dwordx4 a[84:87], v37, s[24:27], 0 offen offset:1024// 000000007050: E05C1400 80865425
	v_mfma_f32_16x16x32_fp8_fp8 v[52:55], a[154:155], a[2:3], v[52:55]// 000000007058: D3F30034 1CD2059A
	v_mfma_f32_16x16x32_fp8_fp8 v[52:55], a[156:157], a[4:5], v[52:55]// 000000007060: D3F30034 1CD2099C
	v_mfma_f32_16x16x32_fp8_fp8 v[52:55], a[158:159], a[6:7], v[52:55]// 000000007068: D3F30034 1CD20D9E
	v_mfma_f32_16x16x32_fp8_fp8 v[56:59], a[160:161], a[0:1], v[56:59]// 000000007070: D3F30038 1CE201A0
	buffer_load_dwordx4 a[88:91], v38, s[24:27], 0 offen       // 000000007078: E05C1000 80865826
	v_mfma_f32_16x16x32_fp8_fp8 v[56:59], a[162:163], a[2:3], v[56:59]// 000000007080: D3F30038 1CE205A2
	v_mfma_f32_16x16x32_fp8_fp8 v[56:59], a[164:165], a[4:5], v[56:59]// 000000007088: D3F30038 1CE209A4
	v_mfma_f32_16x16x32_fp8_fp8 v[56:59], a[166:167], a[6:7], v[56:59]// 000000007090: D3F30038 1CE20DA6
	v_mfma_f32_16x16x32_fp8_fp8 v[60:63], a[168:169], a[0:1], v[60:63]// 000000007098: D3F3003C 1CF201A8
	buffer_load_dwordx4 a[92:95], v38, s[24:27], 0 offen offset:1024// 0000000070A0: E05C1400 80865C26
	v_mfma_f32_16x16x32_fp8_fp8 v[60:63], a[170:171], a[2:3], v[60:63]// 0000000070A8: D3F3003C 1CF205AA
	v_mfma_f32_16x16x32_fp8_fp8 v[60:63], a[172:173], a[4:5], v[60:63]// 0000000070B0: D3F3003C 1CF209AC
	v_mfma_f32_16x16x32_fp8_fp8 v[60:63], a[174:175], a[6:7], v[60:63]// 0000000070B8: D3F3003C 1CF20DAE
	v_mfma_f32_16x16x32_fp8_fp8 v[64:67], a[176:177], a[0:1], v[64:67]// 0000000070C0: D3F30040 1D0201B0
	buffer_load_dwordx4 a[96:99], v39, s[24:27], 0 offen       // 0000000070C8: E05C1000 80866027
	v_mfma_f32_16x16x32_fp8_fp8 v[64:67], a[178:179], a[2:3], v[64:67]// 0000000070D0: D3F30040 1D0205B2
	v_mfma_f32_16x16x32_fp8_fp8 v[64:67], a[180:181], a[4:5], v[64:67]// 0000000070D8: D3F30040 1D0209B4
	v_mfma_f32_16x16x32_fp8_fp8 v[64:67], a[182:183], a[6:7], v[64:67]// 0000000070E0: D3F30040 1D020DB6
	v_mfma_f32_16x16x32_fp8_fp8 v[68:71], a[184:185], a[0:1], v[68:71]// 0000000070E8: D3F30044 1D1201B8
	buffer_load_dwordx4 a[100:103], v39, s[24:27], 0 offen offset:1024// 0000000070F0: E05C1400 80866427
	v_mfma_f32_16x16x32_fp8_fp8 v[68:71], a[186:187], a[2:3], v[68:71]// 0000000070F8: D3F30044 1D1205BA
	v_mfma_f32_16x16x32_fp8_fp8 v[68:71], a[188:189], a[4:5], v[68:71]// 000000007100: D3F30044 1D1209BC
	v_mfma_f32_16x16x32_fp8_fp8 v[68:71], a[190:191], a[6:7], v[68:71]// 000000007108: D3F30044 1D120DBE
	v_mfma_f32_16x16x32_fp8_fp8 v[72:75], a[192:193], a[0:1], v[72:75]// 000000007110: D3F30048 1D2201C0
	buffer_load_dwordx4 a[104:107], v40, s[24:27], 0 offen     // 000000007118: E05C1000 80866828
	v_mfma_f32_16x16x32_fp8_fp8 v[72:75], a[194:195], a[2:3], v[72:75]// 000000007120: D3F30048 1D2205C2
	v_mfma_f32_16x16x32_fp8_fp8 v[72:75], a[196:197], a[4:5], v[72:75]// 000000007128: D3F30048 1D2209C4
	v_mfma_f32_16x16x32_fp8_fp8 v[72:75], a[198:199], a[6:7], v[72:75]// 000000007130: D3F30048 1D220DC6
	v_mfma_f32_16x16x32_fp8_fp8 v[76:79], a[200:201], a[0:1], v[76:79]// 000000007138: D3F3004C 1D3201C8
	buffer_load_dwordx4 a[108:111], v40, s[24:27], 0 offen offset:1024// 000000007140: E05C1400 80866C28
	v_mfma_f32_16x16x32_fp8_fp8 v[76:79], a[202:203], a[2:3], v[76:79]// 000000007148: D3F3004C 1D3205CA
	v_mfma_f32_16x16x32_fp8_fp8 v[76:79], a[204:205], a[4:5], v[76:79]// 000000007150: D3F3004C 1D3209CC
	v_mfma_f32_16x16x32_fp8_fp8 v[76:79], a[206:207], a[6:7], v[76:79]// 000000007158: D3F3004C 1D320DCE
	buffer_load_dwordx4 a[112:115], v41, s[24:27], 0 offen     // 000000007160: E05C1000 80867029
	buffer_load_dwordx4 a[116:119], v41, s[24:27], 0 offen offset:1024// 000000007168: E05C1400 80867429
	buffer_load_dwordx4 a[120:123], v42, s[24:27], 0 offen     // 000000007170: E05C1000 8086782A
	buffer_load_dwordx4 a[124:127], v42, s[24:27], 0 offen offset:1024// 000000007178: E05C1400 80867C2A
	buffer_load_dwordx4 a[128:131], v43, s[24:27], 0 offen     // 000000007180: E05C1000 8086802B
	buffer_load_dwordx4 a[132:135], v43, s[24:27], 0 offen offset:1024// 000000007188: E05C1400 8086842B
	buffer_load_dwordx4 a[136:139], v44, s[24:27], 0 offen     // 000000007190: E05C1000 8086882C
	buffer_load_dwordx4 a[140:143], v44, s[24:27], 0 offen offset:1024// 000000007198: E05C1400 80868C2C
	buffer_load_dword v35, s[20:23], 0 offen lds               // 0000000071A0: E0511000 80050023
	s_add_u32 m0, 0x100, s48                                   // 0000000071A8: 807C30FF 00000100
	buffer_load_dword v36, s[20:23], 0 offen lds               // 0000000071B0: E0511000 80050024
	s_add_u32 m0, 0, s49                                       // 0000000071B8: 807C3180
	s_waitcnt vmcnt(18)                                        // 0000000071BC: BF8C4F72
	s_barrier                                                  // 0000000071C0: BF8A0000
	v_mfma_f32_16x16x32_fp8_fp8 v[80:83], a[16:17], a[0:1], v[80:83]// 0000000071C4: D3F30050 1D420110
	buffer_load_dwordx4 a[144:147], v37, s[84:87], 0 offen     // 0000000071CC: E05C1000 80959025
	v_mfma_f32_16x16x32_fp8_fp8 v[80:83], a[18:19], a[2:3], v[80:83]// 0000000071D4: D3F30050 1D420512
	v_mfma_f32_16x16x32_fp8_fp8 v[80:83], a[20:21], a[4:5], v[80:83]// 0000000071DC: D3F30050 1D420914
	ds_read_b128 a[8:11], v2 offset:4352                       // 0000000071E4: DBFE1100 08000002
	ds_read_b128 a[12:15], v2 offset:4416                      // 0000000071EC: DBFE1140 0C000002
	v_mfma_f32_16x16x32_fp8_fp8 v[80:83], a[22:23], a[6:7], v[80:83]// 0000000071F4: D3F30050 1D420D16
	v_mfma_f32_16x16x32_fp8_fp8 v[84:87], a[24:25], a[0:1], v[84:87]// 0000000071FC: D3F30054 1D520118
	buffer_load_dwordx4 a[148:151], v37, s[84:87], 0 offen offset:1024// 000000007204: E05C1400 80959425
	v_mfma_f32_16x16x32_fp8_fp8 v[84:87], a[26:27], a[2:3], v[84:87]// 00000000720C: D3F30054 1D52051A
	v_mfma_f32_16x16x32_fp8_fp8 v[84:87], a[28:29], a[4:5], v[84:87]// 000000007214: D3F30054 1D52091C
	v_mfma_f32_16x16x32_fp8_fp8 v[84:87], a[30:31], a[6:7], v[84:87]// 00000000721C: D3F30054 1D520D1E
	v_mfma_f32_16x16x32_fp8_fp8 v[88:91], a[32:33], a[0:1], v[88:91]// 000000007224: D3F30058 1D620120
	buffer_load_dwordx4 a[152:155], v38, s[84:87], 0 offen     // 00000000722C: E05C1000 80959826
	v_mfma_f32_16x16x32_fp8_fp8 v[88:91], a[34:35], a[2:3], v[88:91]// 000000007234: D3F30058 1D620522
	v_mfma_f32_16x16x32_fp8_fp8 v[88:91], a[36:37], a[4:5], v[88:91]// 00000000723C: D3F30058 1D620924
	v_mfma_f32_16x16x32_fp8_fp8 v[88:91], a[38:39], a[6:7], v[88:91]// 000000007244: D3F30058 1D620D26
	v_mfma_f32_16x16x32_fp8_fp8 v[92:95], a[40:41], a[0:1], v[92:95]// 00000000724C: D3F3005C 1D720128
	buffer_load_dwordx4 a[156:159], v38, s[84:87], 0 offen offset:1024// 000000007254: E05C1400 80959C26
	v_mfma_f32_16x16x32_fp8_fp8 v[92:95], a[42:43], a[2:3], v[92:95]// 00000000725C: D3F3005C 1D72052A
	v_mfma_f32_16x16x32_fp8_fp8 v[92:95], a[44:45], a[4:5], v[92:95]// 000000007264: D3F3005C 1D72092C
	v_mfma_f32_16x16x32_fp8_fp8 v[92:95], a[46:47], a[6:7], v[92:95]// 00000000726C: D3F3005C 1D720D2E
	v_mfma_f32_16x16x32_fp8_fp8 v[96:99], a[48:49], a[0:1], v[96:99]// 000000007274: D3F30060 1D820130
	buffer_load_dwordx4 a[160:163], v39, s[84:87], 0 offen     // 00000000727C: E05C1000 8095A027
	v_mfma_f32_16x16x32_fp8_fp8 v[96:99], a[50:51], a[2:3], v[96:99]// 000000007284: D3F30060 1D820532
	v_mfma_f32_16x16x32_fp8_fp8 v[96:99], a[52:53], a[4:5], v[96:99]// 00000000728C: D3F30060 1D820934
	v_mfma_f32_16x16x32_fp8_fp8 v[96:99], a[54:55], a[6:7], v[96:99]// 000000007294: D3F30060 1D820D36
	v_mfma_f32_16x16x32_fp8_fp8 v[100:103], a[56:57], a[0:1], v[100:103]// 00000000729C: D3F30064 1D920138
	buffer_load_dwordx4 a[164:167], v39, s[84:87], 0 offen offset:1024// 0000000072A4: E05C1400 8095A427
	v_mfma_f32_16x16x32_fp8_fp8 v[100:103], a[58:59], a[2:3], v[100:103]// 0000000072AC: D3F30064 1D92053A
	v_mfma_f32_16x16x32_fp8_fp8 v[100:103], a[60:61], a[4:5], v[100:103]// 0000000072B4: D3F30064 1D92093C
	v_mfma_f32_16x16x32_fp8_fp8 v[100:103], a[62:63], a[6:7], v[100:103]// 0000000072BC: D3F30064 1D920D3E
	v_mfma_f32_16x16x32_fp8_fp8 v[104:107], a[64:65], a[0:1], v[104:107]// 0000000072C4: D3F30068 1DA20140
	buffer_load_dwordx4 a[168:171], v40, s[84:87], 0 offen     // 0000000072CC: E05C1000 8095A828
	s_add_u32 s60, 0x180, s80                                  // 0000000072D4: 803C50FF 00000180
	s_cmp_lt_u32 s60, s81                                      // 0000000072DC: BF0A513C
	s_cselect_b32 s57, s57, 0                                  // 0000000072E0: 85398039
	v_mfma_f32_16x16x32_fp8_fp8 v[104:107], a[66:67], a[2:3], v[104:107]// 0000000072E4: D3F30068 1DA20542
	s_add_u32 s60, 0x100, s80                                  // 0000000072EC: 803C50FF 00000100
	s_cmp_lt_u32 s60, s81                                      // 0000000072F4: BF0A513C
	s_cselect_b32 s58, s58, 0                                  // 0000000072F8: 853A803A
	v_mfma_f32_16x16x32_fp8_fp8 v[104:107], a[68:69], a[4:5], v[104:107]// 0000000072FC: D3F30068 1DA20944
	s_add_u32 s60, 0x100, s80                                  // 000000007304: 803C50FF 00000100
	s_cmp_lt_u32 s60, s81                                      // 00000000730C: BF0A513C
	s_cselect_b32 s83, s83, 0                                  // 000000007310: 85538053
	v_mfma_f32_16x16x32_fp8_fp8 v[104:107], a[70:71], a[6:7], v[104:107]// 000000007314: D3F30068 1DA20D46
	s_add_u32 s24, s58, s24                                    // 00000000731C: 8018183A
	s_addc_u32 s25, 0, s25                                     // 000000007320: 82191980
	v_mfma_f32_16x16x32_fp8_fp8 v[108:111], a[72:73], a[0:1], v[108:111]// 000000007324: D3F3006C 1DB20148
	buffer_load_dwordx4 a[172:175], v40, s[84:87], 0 offen offset:1024// 00000000732C: E05C1400 8095AC28
	s_add_u32 s20, s57, s20                                    // 000000007334: 80141439
	s_addc_u32 s21, 0, s21                                     // 000000007338: 82151580
	v_mfma_f32_16x16x32_fp8_fp8 v[108:111], a[74:75], a[2:3], v[108:111]// 00000000733C: D3F3006C 1DB2054A
	v_mfma_f32_16x16x32_fp8_fp8 v[108:111], a[76:77], a[4:5], v[108:111]// 000000007344: D3F3006C 1DB2094C
	v_mfma_f32_16x16x32_fp8_fp8 v[108:111], a[78:79], a[6:7], v[108:111]// 00000000734C: D3F3006C 1DB20D4E
	buffer_load_dwordx4 a[176:179], v41, s[84:87], 0 offen     // 000000007354: E05C1000 8095B029
	buffer_load_dwordx4 a[180:183], v41, s[84:87], 0 offen offset:1024// 00000000735C: E05C1400 8095B429
	buffer_load_dwordx4 a[184:187], v42, s[84:87], 0 offen     // 000000007364: E05C1000 8095B82A
	buffer_load_dwordx4 a[188:191], v42, s[84:87], 0 offen offset:1024// 00000000736C: E05C1400 8095BC2A
	buffer_load_dwordx4 a[192:195], v43, s[84:87], 0 offen     // 000000007374: E05C1000 8095C02B
	buffer_load_dwordx4 a[196:199], v43, s[84:87], 0 offen offset:1024// 00000000737C: E05C1400 8095C42B
	buffer_load_dwordx4 a[200:203], v44, s[84:87], 0 offen     // 000000007384: E05C1000 8095C82C
	buffer_load_dwordx4 a[204:207], v44, s[84:87], 0 offen offset:1024// 00000000738C: E05C1400 8095CC2C
	s_add_u32 s84, s83, s84                                    // 000000007394: 80545453
	s_addc_u32 s85, 0, s85                                     // 000000007398: 82555580
	s_addk_i32 s80, 0x80                                       // 00000000739C: B7500080
	s_cmp_lt_i32 s80, s81                                      // 0000000073A0: BF045150
	s_cbranch_scc0 label_1351                                  // 0000000073A4: BF8400E4
	s_waitcnt vmcnt(18) lgkmcnt(0)                             // 0000000073A8: BF8C4072
	v_mfma_f32_16x16x32_fp8_fp8 v[48:51], a[80:81], a[8:9], v[48:51]// 0000000073AC: D3F30030 1CC21150
	buffer_load_dwordx4 a[16:19], v37, s[24:27], 0 offen       // 0000000073B4: E05C1000 80861025
	v_mfma_f32_16x16x32_fp8_fp8 v[48:51], a[82:83], a[10:11], v[48:51]// 0000000073BC: D3F30030 1CC21552
	v_mfma_f32_16x16x32_fp8_fp8 v[48:51], a[84:85], a[12:13], v[48:51]// 0000000073C4: D3F30030 1CC21954
	v_mfma_f32_16x16x32_fp8_fp8 v[48:51], a[86:87], a[14:15], v[48:51]// 0000000073CC: D3F30030 1CC21D56
	v_mfma_f32_16x16x32_fp8_fp8 v[52:55], a[88:89], a[8:9], v[52:55]// 0000000073D4: D3F30034 1CD21158
	buffer_load_dwordx4 a[20:23], v37, s[24:27], 0 offen offset:1024// 0000000073DC: E05C1400 80861425
	v_mfma_f32_16x16x32_fp8_fp8 v[52:55], a[90:91], a[10:11], v[52:55]// 0000000073E4: D3F30034 1CD2155A
	v_mfma_f32_16x16x32_fp8_fp8 v[52:55], a[92:93], a[12:13], v[52:55]// 0000000073EC: D3F30034 1CD2195C
	v_mfma_f32_16x16x32_fp8_fp8 v[52:55], a[94:95], a[14:15], v[52:55]// 0000000073F4: D3F30034 1CD21D5E
	v_mfma_f32_16x16x32_fp8_fp8 v[56:59], a[96:97], a[8:9], v[56:59]// 0000000073FC: D3F30038 1CE21160
	buffer_load_dwordx4 a[24:27], v38, s[24:27], 0 offen       // 000000007404: E05C1000 80861826
	v_mfma_f32_16x16x32_fp8_fp8 v[56:59], a[98:99], a[10:11], v[56:59]// 00000000740C: D3F30038 1CE21562
	v_mfma_f32_16x16x32_fp8_fp8 v[56:59], a[100:101], a[12:13], v[56:59]// 000000007414: D3F30038 1CE21964
	v_mfma_f32_16x16x32_fp8_fp8 v[56:59], a[102:103], a[14:15], v[56:59]// 00000000741C: D3F30038 1CE21D66
	v_mfma_f32_16x16x32_fp8_fp8 v[60:63], a[104:105], a[8:9], v[60:63]// 000000007424: D3F3003C 1CF21168
	buffer_load_dwordx4 a[28:31], v38, s[24:27], 0 offen offset:1024// 00000000742C: E05C1400 80861C26
	v_mfma_f32_16x16x32_fp8_fp8 v[60:63], a[106:107], a[10:11], v[60:63]// 000000007434: D3F3003C 1CF2156A
	v_mfma_f32_16x16x32_fp8_fp8 v[60:63], a[108:109], a[12:13], v[60:63]// 00000000743C: D3F3003C 1CF2196C
	v_mfma_f32_16x16x32_fp8_fp8 v[60:63], a[110:111], a[14:15], v[60:63]// 000000007444: D3F3003C 1CF21D6E
	v_mfma_f32_16x16x32_fp8_fp8 v[64:67], a[112:113], a[8:9], v[64:67]// 00000000744C: D3F30040 1D021170
	buffer_load_dwordx4 a[32:35], v39, s[24:27], 0 offen       // 000000007454: E05C1000 80862027
	v_mfma_f32_16x16x32_fp8_fp8 v[64:67], a[114:115], a[10:11], v[64:67]// 00000000745C: D3F30040 1D021572
	v_mfma_f32_16x16x32_fp8_fp8 v[64:67], a[116:117], a[12:13], v[64:67]// 000000007464: D3F30040 1D021974
	v_mfma_f32_16x16x32_fp8_fp8 v[64:67], a[118:119], a[14:15], v[64:67]// 00000000746C: D3F30040 1D021D76
	v_mfma_f32_16x16x32_fp8_fp8 v[68:71], a[120:121], a[8:9], v[68:71]// 000000007474: D3F30044 1D121178
	buffer_load_dwordx4 a[36:39], v39, s[24:27], 0 offen offset:1024// 00000000747C: E05C1400 80862427
	v_mfma_f32_16x16x32_fp8_fp8 v[68:71], a[122:123], a[10:11], v[68:71]// 000000007484: D3F30044 1D12157A
	v_mfma_f32_16x16x32_fp8_fp8 v[68:71], a[124:125], a[12:13], v[68:71]// 00000000748C: D3F30044 1D12197C
	v_mfma_f32_16x16x32_fp8_fp8 v[68:71], a[126:127], a[14:15], v[68:71]// 000000007494: D3F30044 1D121D7E
	v_mfma_f32_16x16x32_fp8_fp8 v[72:75], a[128:129], a[8:9], v[72:75]// 00000000749C: D3F30048 1D221180
	buffer_load_dwordx4 a[40:43], v40, s[24:27], 0 offen       // 0000000074A4: E05C1000 80862828
	v_mfma_f32_16x16x32_fp8_fp8 v[72:75], a[130:131], a[10:11], v[72:75]// 0000000074AC: D3F30048 1D221582
	v_mfma_f32_16x16x32_fp8_fp8 v[72:75], a[132:133], a[12:13], v[72:75]// 0000000074B4: D3F30048 1D221984
	v_mfma_f32_16x16x32_fp8_fp8 v[72:75], a[134:135], a[14:15], v[72:75]// 0000000074BC: D3F30048 1D221D86
	v_mfma_f32_16x16x32_fp8_fp8 v[76:79], a[136:137], a[8:9], v[76:79]// 0000000074C4: D3F3004C 1D321188
	buffer_load_dwordx4 a[44:47], v40, s[24:27], 0 offen offset:1024// 0000000074CC: E05C1400 80862C28
	v_mfma_f32_16x16x32_fp8_fp8 v[76:79], a[138:139], a[10:11], v[76:79]// 0000000074D4: D3F3004C 1D32158A
	v_mfma_f32_16x16x32_fp8_fp8 v[76:79], a[140:141], a[12:13], v[76:79]// 0000000074DC: D3F3004C 1D32198C
	v_mfma_f32_16x16x32_fp8_fp8 v[76:79], a[142:143], a[14:15], v[76:79]// 0000000074E4: D3F3004C 1D321D8E
	buffer_load_dwordx4 a[48:51], v41, s[24:27], 0 offen       // 0000000074EC: E05C1000 80863029
	buffer_load_dwordx4 a[52:55], v41, s[24:27], 0 offen offset:1024// 0000000074F4: E05C1400 80863429
	buffer_load_dwordx4 a[56:59], v42, s[24:27], 0 offen       // 0000000074FC: E05C1000 8086382A
	buffer_load_dwordx4 a[60:63], v42, s[24:27], 0 offen offset:1024// 000000007504: E05C1400 80863C2A
	buffer_load_dwordx4 a[64:67], v43, s[24:27], 0 offen       // 00000000750C: E05C1000 8086402B
	buffer_load_dwordx4 a[68:71], v43, s[24:27], 0 offen offset:1024// 000000007514: E05C1400 8086442B
	buffer_load_dwordx4 a[72:75], v44, s[24:27], 0 offen       // 00000000751C: E05C1000 8086482C
	buffer_load_dwordx4 a[76:79], v44, s[24:27], 0 offen offset:1024// 000000007524: E05C1400 80864C2C
	buffer_load_dword v35, s[20:23], 0 offen lds               // 00000000752C: E0511000 80050023
	s_add_u32 m0, 0x100, s49                                   // 000000007534: 807C31FF 00000100
	buffer_load_dword v36, s[20:23], 0 offen lds               // 00000000753C: E0511000 80050024
	s_add_u32 m0, 0, s50                                       // 000000007544: 807C3280
	s_waitcnt vmcnt(18)                                        // 000000007548: BF8C4F72
	s_barrier                                                  // 00000000754C: BF8A0000
	v_mfma_f32_16x16x32_fp8_fp8 v[80:83], a[144:145], a[8:9], v[80:83]// 000000007550: D3F30050 1D421190
	buffer_load_dwordx4 a[80:83], v37, s[84:87], 0 offen       // 000000007558: E05C1000 80955025
	v_mfma_f32_16x16x32_fp8_fp8 v[80:83], a[146:147], a[10:11], v[80:83]// 000000007560: D3F30050 1D421592
	v_mfma_f32_16x16x32_fp8_fp8 v[80:83], a[148:149], a[12:13], v[80:83]// 000000007568: D3F30050 1D421994
	ds_read_b128 a[0:3], v2                                    // 000000007570: DBFE0000 00000002
	ds_read_b128 a[4:7], v2 offset:64                          // 000000007578: DBFE0040 04000002
	v_mfma_f32_16x16x32_fp8_fp8 v[80:83], a[150:151], a[14:15], v[80:83]// 000000007580: D3F30050 1D421D96
	v_mfma_f32_16x16x32_fp8_fp8 v[84:87], a[152:153], a[8:9], v[84:87]// 000000007588: D3F30054 1D521198
	buffer_load_dwordx4 a[84:87], v37, s[84:87], 0 offen offset:1024// 000000007590: E05C1400 80955425
	v_mfma_f32_16x16x32_fp8_fp8 v[84:87], a[154:155], a[10:11], v[84:87]// 000000007598: D3F30054 1D52159A
	v_mfma_f32_16x16x32_fp8_fp8 v[84:87], a[156:157], a[12:13], v[84:87]// 0000000075A0: D3F30054 1D52199C
	v_mfma_f32_16x16x32_fp8_fp8 v[84:87], a[158:159], a[14:15], v[84:87]// 0000000075A8: D3F30054 1D521D9E
	v_mfma_f32_16x16x32_fp8_fp8 v[88:91], a[160:161], a[8:9], v[88:91]// 0000000075B0: D3F30058 1D6211A0
	buffer_load_dwordx4 a[88:91], v38, s[84:87], 0 offen       // 0000000075B8: E05C1000 80955826
	v_mfma_f32_16x16x32_fp8_fp8 v[88:91], a[162:163], a[10:11], v[88:91]// 0000000075C0: D3F30058 1D6215A2
	v_mfma_f32_16x16x32_fp8_fp8 v[88:91], a[164:165], a[12:13], v[88:91]// 0000000075C8: D3F30058 1D6219A4
	v_mfma_f32_16x16x32_fp8_fp8 v[88:91], a[166:167], a[14:15], v[88:91]// 0000000075D0: D3F30058 1D621DA6
	v_mfma_f32_16x16x32_fp8_fp8 v[92:95], a[168:169], a[8:9], v[92:95]// 0000000075D8: D3F3005C 1D7211A8
	buffer_load_dwordx4 a[92:95], v38, s[84:87], 0 offen offset:1024// 0000000075E0: E05C1400 80955C26
	v_mfma_f32_16x16x32_fp8_fp8 v[92:95], a[170:171], a[10:11], v[92:95]// 0000000075E8: D3F3005C 1D7215AA
	v_mfma_f32_16x16x32_fp8_fp8 v[92:95], a[172:173], a[12:13], v[92:95]// 0000000075F0: D3F3005C 1D7219AC
	v_mfma_f32_16x16x32_fp8_fp8 v[92:95], a[174:175], a[14:15], v[92:95]// 0000000075F8: D3F3005C 1D721DAE
	v_mfma_f32_16x16x32_fp8_fp8 v[96:99], a[176:177], a[8:9], v[96:99]// 000000007600: D3F30060 1D8211B0
	buffer_load_dwordx4 a[96:99], v39, s[84:87], 0 offen       // 000000007608: E05C1000 80956027
	v_mfma_f32_16x16x32_fp8_fp8 v[96:99], a[178:179], a[10:11], v[96:99]// 000000007610: D3F30060 1D8215B2
	v_mfma_f32_16x16x32_fp8_fp8 v[96:99], a[180:181], a[12:13], v[96:99]// 000000007618: D3F30060 1D8219B4
	v_mfma_f32_16x16x32_fp8_fp8 v[96:99], a[182:183], a[14:15], v[96:99]// 000000007620: D3F30060 1D821DB6
	v_mfma_f32_16x16x32_fp8_fp8 v[100:103], a[184:185], a[8:9], v[100:103]// 000000007628: D3F30064 1D9211B8
	buffer_load_dwordx4 a[100:103], v39, s[84:87], 0 offen offset:1024// 000000007630: E05C1400 80956427
	v_mfma_f32_16x16x32_fp8_fp8 v[100:103], a[186:187], a[10:11], v[100:103]// 000000007638: D3F30064 1D9215BA
	v_mfma_f32_16x16x32_fp8_fp8 v[100:103], a[188:189], a[12:13], v[100:103]// 000000007640: D3F30064 1D9219BC
	v_mfma_f32_16x16x32_fp8_fp8 v[100:103], a[190:191], a[14:15], v[100:103]// 000000007648: D3F30064 1D921DBE
	v_mfma_f32_16x16x32_fp8_fp8 v[104:107], a[192:193], a[8:9], v[104:107]// 000000007650: D3F30068 1DA211C0
	buffer_load_dwordx4 a[104:107], v40, s[84:87], 0 offen     // 000000007658: E05C1000 80956828
	s_add_u32 s60, 0x180, s80                                  // 000000007660: 803C50FF 00000180
	s_cmp_lt_u32 s60, s81                                      // 000000007668: BF0A513C
	s_cselect_b32 s57, s57, 0                                  // 00000000766C: 85398039
	v_mfma_f32_16x16x32_fp8_fp8 v[104:107], a[194:195], a[10:11], v[104:107]// 000000007670: D3F30068 1DA215C2
	s_add_u32 s60, 0x100, s80                                  // 000000007678: 803C50FF 00000100
	s_cmp_lt_u32 s60, s81                                      // 000000007680: BF0A513C
	s_cselect_b32 s58, s58, 0                                  // 000000007684: 853A803A
	v_mfma_f32_16x16x32_fp8_fp8 v[104:107], a[196:197], a[12:13], v[104:107]// 000000007688: D3F30068 1DA219C4
	s_add_u32 s60, 0x100, s80                                  // 000000007690: 803C50FF 00000100
	s_cmp_lt_u32 s60, s81                                      // 000000007698: BF0A513C
	s_cselect_b32 s83, s83, 0                                  // 00000000769C: 85538053
	v_mfma_f32_16x16x32_fp8_fp8 v[104:107], a[198:199], a[14:15], v[104:107]// 0000000076A0: D3F30068 1DA21DC6
	s_add_u32 s24, s58, s24                                    // 0000000076A8: 8018183A
	s_addc_u32 s25, 0, s25                                     // 0000000076AC: 82191980
	v_mfma_f32_16x16x32_fp8_fp8 v[108:111], a[200:201], a[8:9], v[108:111]// 0000000076B0: D3F3006C 1DB211C8
	buffer_load_dwordx4 a[108:111], v40, s[84:87], 0 offen offset:1024// 0000000076B8: E05C1400 80956C28
	s_add_u32 s20, s57, s20                                    // 0000000076C0: 80141439
	s_addc_u32 s21, 0, s21                                     // 0000000076C4: 82151580
	v_mfma_f32_16x16x32_fp8_fp8 v[108:111], a[202:203], a[10:11], v[108:111]// 0000000076C8: D3F3006C 1DB215CA
	v_mfma_f32_16x16x32_fp8_fp8 v[108:111], a[204:205], a[12:13], v[108:111]// 0000000076D0: D3F3006C 1DB219CC
	v_mfma_f32_16x16x32_fp8_fp8 v[108:111], a[206:207], a[14:15], v[108:111]// 0000000076D8: D3F3006C 1DB21DCE
	buffer_load_dwordx4 a[112:115], v41, s[84:87], 0 offen     // 0000000076E0: E05C1000 80957029
	buffer_load_dwordx4 a[116:119], v41, s[84:87], 0 offen offset:1024// 0000000076E8: E05C1400 80957429
	buffer_load_dwordx4 a[120:123], v42, s[84:87], 0 offen     // 0000000076F0: E05C1000 8095782A
	buffer_load_dwordx4 a[124:127], v42, s[84:87], 0 offen offset:1024// 0000000076F8: E05C1400 80957C2A
	buffer_load_dwordx4 a[128:131], v43, s[84:87], 0 offen     // 000000007700: E05C1000 8095802B
	buffer_load_dwordx4 a[132:135], v43, s[84:87], 0 offen offset:1024// 000000007708: E05C1400 8095842B
	buffer_load_dwordx4 a[136:139], v44, s[84:87], 0 offen     // 000000007710: E05C1000 8095882C
	buffer_load_dwordx4 a[140:143], v44, s[84:87], 0 offen offset:1024// 000000007718: E05C1400 80958C2C
	s_add_u32 s84, s83, s84                                    // 000000007720: 80545453
	s_addc_u32 s85, 0, s85                                     // 000000007724: 82555580
	s_addk_i32 s80, 0x80                                       // 000000007728: B7500080
	s_cmp_lt_i32 s80, s81                                      // 00000000772C: BF045150
	s_cbranch_scc0 label_1351                                  // 000000007730: BF840001
	s_branch label_0DFE                                        // 000000007734: BF82FAAD

0000000000007738 <label_1351>:
	v_mul_f32_dpp v48, v25, v48 row_newbcast:0 row_mask:0xf bank_mask:0xf// 000000007738: 0A6060FA FF015019
	v_mul_f32_dpp v49, v25, v49 row_newbcast:1 row_mask:0xf bank_mask:0xf// 000000007740: 0A6262FA FF015119
	v_mul_f32_dpp v50, v25, v50 row_newbcast:2 row_mask:0xf bank_mask:0xf// 000000007748: 0A6464FA FF015219
	v_mul_f32_dpp v51, v25, v51 row_newbcast:3 row_mask:0xf bank_mask:0xf// 000000007750: 0A6666FA FF015319
	v_mul_f32_dpp v52, v25, v52 row_newbcast:4 row_mask:0xf bank_mask:0xf// 000000007758: 0A6868FA FF015419
	v_mul_f32_dpp v53, v25, v53 row_newbcast:5 row_mask:0xf bank_mask:0xf// 000000007760: 0A6A6AFA FF015519
	v_mul_f32_dpp v54, v25, v54 row_newbcast:6 row_mask:0xf bank_mask:0xf// 000000007768: 0A6C6CFA FF015619
	v_mul_f32_dpp v55, v25, v55 row_newbcast:7 row_mask:0xf bank_mask:0xf// 000000007770: 0A6E6EFA FF015719
	v_mul_f32_dpp v56, v25, v56 row_newbcast:8 row_mask:0xf bank_mask:0xf// 000000007778: 0A7070FA FF015819
	v_mul_f32_dpp v57, v25, v57 row_newbcast:9 row_mask:0xf bank_mask:0xf// 000000007780: 0A7272FA FF015919
	v_mul_f32_dpp v58, v25, v58 row_newbcast:10 row_mask:0xf bank_mask:0xf// 000000007788: 0A7474FA FF015A19
	v_mul_f32_dpp v59, v25, v59 row_newbcast:11 row_mask:0xf bank_mask:0xf// 000000007790: 0A7676FA FF015B19
	v_mul_f32_dpp v60, v25, v60 row_newbcast:12 row_mask:0xf bank_mask:0xf// 000000007798: 0A7878FA FF015C19
	v_mul_f32_dpp v61, v25, v61 row_newbcast:13 row_mask:0xf bank_mask:0xf// 0000000077A0: 0A7A7AFA FF015D19
	v_mul_f32_dpp v62, v25, v62 row_newbcast:14 row_mask:0xf bank_mask:0xf// 0000000077A8: 0A7C7CFA FF015E19
	v_mul_f32_dpp v63, v25, v63 row_newbcast:15 row_mask:0xf bank_mask:0xf// 0000000077B0: 0A7E7EFA FF015F19
	v_mul_f32_dpp v64, v26, v64 row_newbcast:0 row_mask:0xf bank_mask:0xf// 0000000077B8: 0A8080FA FF01501A
	v_mul_f32_dpp v65, v26, v65 row_newbcast:1 row_mask:0xf bank_mask:0xf// 0000000077C0: 0A8282FA FF01511A
	v_mul_f32_dpp v66, v26, v66 row_newbcast:2 row_mask:0xf bank_mask:0xf// 0000000077C8: 0A8484FA FF01521A
	v_mul_f32_dpp v67, v26, v67 row_newbcast:3 row_mask:0xf bank_mask:0xf// 0000000077D0: 0A8686FA FF01531A
	v_mul_f32_dpp v68, v26, v68 row_newbcast:4 row_mask:0xf bank_mask:0xf// 0000000077D8: 0A8888FA FF01541A
	v_mul_f32_dpp v69, v26, v69 row_newbcast:5 row_mask:0xf bank_mask:0xf// 0000000077E0: 0A8A8AFA FF01551A
	v_mul_f32_dpp v70, v26, v70 row_newbcast:6 row_mask:0xf bank_mask:0xf// 0000000077E8: 0A8C8CFA FF01561A
	v_mul_f32_dpp v71, v26, v71 row_newbcast:7 row_mask:0xf bank_mask:0xf// 0000000077F0: 0A8E8EFA FF01571A
	v_mul_f32_dpp v72, v26, v72 row_newbcast:8 row_mask:0xf bank_mask:0xf// 0000000077F8: 0A9090FA FF01581A
	v_mul_f32_dpp v73, v26, v73 row_newbcast:9 row_mask:0xf bank_mask:0xf// 000000007800: 0A9292FA FF01591A
	v_mul_f32_dpp v74, v26, v74 row_newbcast:10 row_mask:0xf bank_mask:0xf// 000000007808: 0A9494FA FF015A1A
	v_mul_f32_dpp v75, v26, v75 row_newbcast:11 row_mask:0xf bank_mask:0xf// 000000007810: 0A9696FA FF015B1A
	v_mul_f32_dpp v76, v26, v76 row_newbcast:12 row_mask:0xf bank_mask:0xf// 000000007818: 0A9898FA FF015C1A
	v_mul_f32_dpp v77, v26, v77 row_newbcast:13 row_mask:0xf bank_mask:0xf// 000000007820: 0A9A9AFA FF015D1A
	v_mul_f32_dpp v78, v26, v78 row_newbcast:14 row_mask:0xf bank_mask:0xf// 000000007828: 0A9C9CFA FF015E1A
	v_mul_f32_dpp v79, v26, v79 row_newbcast:15 row_mask:0xf bank_mask:0xf// 000000007830: 0A9E9EFA FF015F1A
	v_mul_f32_dpp v80, v28, v80 row_newbcast:0 row_mask:0xf bank_mask:0xf// 000000007838: 0AA0A0FA FF01501C
	v_mul_f32_dpp v81, v28, v81 row_newbcast:1 row_mask:0xf bank_mask:0xf// 000000007840: 0AA2A2FA FF01511C
	v_mul_f32_dpp v82, v28, v82 row_newbcast:2 row_mask:0xf bank_mask:0xf// 000000007848: 0AA4A4FA FF01521C
	v_mul_f32_dpp v83, v28, v83 row_newbcast:3 row_mask:0xf bank_mask:0xf// 000000007850: 0AA6A6FA FF01531C
	v_mul_f32_dpp v84, v28, v84 row_newbcast:4 row_mask:0xf bank_mask:0xf// 000000007858: 0AA8A8FA FF01541C
	v_mul_f32_dpp v85, v28, v85 row_newbcast:5 row_mask:0xf bank_mask:0xf// 000000007860: 0AAAAAFA FF01551C
	v_mul_f32_dpp v86, v28, v86 row_newbcast:6 row_mask:0xf bank_mask:0xf// 000000007868: 0AACACFA FF01561C
	v_mul_f32_dpp v87, v28, v87 row_newbcast:7 row_mask:0xf bank_mask:0xf// 000000007870: 0AAEAEFA FF01571C
	v_mul_f32_dpp v88, v28, v88 row_newbcast:8 row_mask:0xf bank_mask:0xf// 000000007878: 0AB0B0FA FF01581C
	v_mul_f32_dpp v89, v28, v89 row_newbcast:9 row_mask:0xf bank_mask:0xf// 000000007880: 0AB2B2FA FF01591C
	v_mul_f32_dpp v90, v28, v90 row_newbcast:10 row_mask:0xf bank_mask:0xf// 000000007888: 0AB4B4FA FF015A1C
	v_mul_f32_dpp v91, v28, v91 row_newbcast:11 row_mask:0xf bank_mask:0xf// 000000007890: 0AB6B6FA FF015B1C
	v_mul_f32_dpp v92, v28, v92 row_newbcast:12 row_mask:0xf bank_mask:0xf// 000000007898: 0AB8B8FA FF015C1C
	v_mul_f32_dpp v93, v28, v93 row_newbcast:13 row_mask:0xf bank_mask:0xf// 0000000078A0: 0ABABAFA FF015D1C
	v_mul_f32_dpp v94, v28, v94 row_newbcast:14 row_mask:0xf bank_mask:0xf// 0000000078A8: 0ABCBCFA FF015E1C
	v_mul_f32_dpp v95, v28, v95 row_newbcast:15 row_mask:0xf bank_mask:0xf// 0000000078B0: 0ABEBEFA FF015F1C
	v_mul_f32_dpp v96, v29, v96 row_newbcast:0 row_mask:0xf bank_mask:0xf// 0000000078B8: 0AC0C0FA FF01501D
	v_mul_f32_dpp v97, v29, v97 row_newbcast:1 row_mask:0xf bank_mask:0xf// 0000000078C0: 0AC2C2FA FF01511D
	v_mul_f32_dpp v98, v29, v98 row_newbcast:2 row_mask:0xf bank_mask:0xf// 0000000078C8: 0AC4C4FA FF01521D
	v_mul_f32_dpp v99, v29, v99 row_newbcast:3 row_mask:0xf bank_mask:0xf// 0000000078D0: 0AC6C6FA FF01531D
	v_mul_f32_dpp v100, v29, v100 row_newbcast:4 row_mask:0xf bank_mask:0xf// 0000000078D8: 0AC8C8FA FF01541D
	v_mul_f32_dpp v101, v29, v101 row_newbcast:5 row_mask:0xf bank_mask:0xf// 0000000078E0: 0ACACAFA FF01551D
	v_mul_f32_dpp v102, v29, v102 row_newbcast:6 row_mask:0xf bank_mask:0xf// 0000000078E8: 0ACCCCFA FF01561D
	v_mul_f32_dpp v103, v29, v103 row_newbcast:7 row_mask:0xf bank_mask:0xf// 0000000078F0: 0ACECEFA FF01571D
	v_mul_f32_dpp v104, v29, v104 row_newbcast:8 row_mask:0xf bank_mask:0xf// 0000000078F8: 0AD0D0FA FF01581D
	v_mul_f32_dpp v105, v29, v105 row_newbcast:9 row_mask:0xf bank_mask:0xf// 000000007900: 0AD2D2FA FF01591D
	v_mul_f32_dpp v106, v29, v106 row_newbcast:10 row_mask:0xf bank_mask:0xf// 000000007908: 0AD4D4FA FF015A1D
	v_mul_f32_dpp v107, v29, v107 row_newbcast:11 row_mask:0xf bank_mask:0xf// 000000007910: 0AD6D6FA FF015B1D
	v_mul_f32_dpp v108, v29, v108 row_newbcast:12 row_mask:0xf bank_mask:0xf// 000000007918: 0AD8D8FA FF015C1D
	v_mul_f32_dpp v109, v29, v109 row_newbcast:13 row_mask:0xf bank_mask:0xf// 000000007920: 0ADADAFA FF015D1D
	v_mul_f32_dpp v110, v29, v110 row_newbcast:14 row_mask:0xf bank_mask:0xf// 000000007928: 0ADCDCFA FF015E1D
	v_mul_f32_dpp v111, v29, v111 row_newbcast:15 row_mask:0xf bank_mask:0xf// 000000007930: 0ADEDEFA FF015F1D
	v_mov_b32_e32 v4, v32                                      // 000000007938: 7E080320
	v_mov_b32_e32 v5, v4                                       // 00000000793C: 7E0A0304
	v_pk_mul_f32 v[48:49], v[4:5], v[48:49]                    // 000000007940: D3B14030 18026104
	v_pk_mul_f32 v[80:81], v[4:5], v[80:81]                    // 000000007948: D3B14050 1802A104
	v_pk_mul_f32 v[50:51], v[4:5], v[50:51]                    // 000000007950: D3B14032 18026504
	v_pk_mul_f32 v[82:83], v[4:5], v[82:83]                    // 000000007958: D3B14052 1802A504
	v_pk_mul_f32 v[52:53], v[4:5], v[52:53]                    // 000000007960: D3B14034 18026904
	v_pk_mul_f32 v[84:85], v[4:5], v[84:85]                    // 000000007968: D3B14054 1802A904
	v_pk_mul_f32 v[54:55], v[4:5], v[54:55]                    // 000000007970: D3B14036 18026D04
	v_pk_mul_f32 v[86:87], v[4:5], v[86:87]                    // 000000007978: D3B14056 1802AD04
	v_pk_mul_f32 v[56:57], v[4:5], v[56:57]                    // 000000007980: D3B14038 18027104
	v_pk_mul_f32 v[88:89], v[4:5], v[88:89]                    // 000000007988: D3B14058 1802B104
	v_pk_mul_f32 v[58:59], v[4:5], v[58:59]                    // 000000007990: D3B1403A 18027504
	v_pk_mul_f32 v[90:91], v[4:5], v[90:91]                    // 000000007998: D3B1405A 1802B504
	v_pk_mul_f32 v[60:61], v[4:5], v[60:61]                    // 0000000079A0: D3B1403C 18027904
	v_pk_mul_f32 v[92:93], v[4:5], v[92:93]                    // 0000000079A8: D3B1405C 1802B904
	v_pk_mul_f32 v[62:63], v[4:5], v[62:63]                    // 0000000079B0: D3B1403E 18027D04
	v_pk_mul_f32 v[94:95], v[4:5], v[94:95]                    // 0000000079B8: D3B1405E 1802BD04
	v_pk_mul_f32 v[64:65], v[4:5], v[64:65]                    // 0000000079C0: D3B14040 18028104
	v_pk_mul_f32 v[96:97], v[4:5], v[96:97]                    // 0000000079C8: D3B14060 1802C104
	v_pk_mul_f32 v[66:67], v[4:5], v[66:67]                    // 0000000079D0: D3B14042 18028504
	v_pk_mul_f32 v[98:99], v[4:5], v[98:99]                    // 0000000079D8: D3B14062 1802C504
	v_pk_mul_f32 v[68:69], v[4:5], v[68:69]                    // 0000000079E0: D3B14044 18028904
	v_pk_mul_f32 v[100:101], v[4:5], v[100:101]                // 0000000079E8: D3B14064 1802C904
	v_pk_mul_f32 v[70:71], v[4:5], v[70:71]                    // 0000000079F0: D3B14046 18028D04
	v_pk_mul_f32 v[102:103], v[4:5], v[102:103]                // 0000000079F8: D3B14066 1802CD04
	v_pk_mul_f32 v[72:73], v[4:5], v[72:73]                    // 000000007A00: D3B14048 18029104
	v_pk_mul_f32 v[104:105], v[4:5], v[104:105]                // 000000007A08: D3B14068 1802D104
	v_pk_mul_f32 v[74:75], v[4:5], v[74:75]                    // 000000007A10: D3B1404A 18029504
	v_pk_mul_f32 v[106:107], v[4:5], v[106:107]                // 000000007A18: D3B1406A 1802D504
	v_pk_mul_f32 v[76:77], v[4:5], v[76:77]                    // 000000007A20: D3B1404C 18029904
	v_pk_mul_f32 v[108:109], v[4:5], v[108:109]                // 000000007A28: D3B1406C 1802D904
	v_pk_mul_f32 v[78:79], v[4:5], v[78:79]                    // 000000007A30: D3B1404E 18029D04
	v_pk_mul_f32 v[110:111], v[4:5], v[110:111]                // 000000007A38: D3B1406E 1802DD04
	s_cmp_eq_u32 s88, 0                                        // 000000007A40: BF068058
	s_cbranch_scc0 label_17F2                                  // 000000007A44: BF8403DD
	s_cmp_eq_u32 s89, 0                                        // 000000007A48: BF068059
	s_cbranch_scc1 label_155C                                  // 000000007A4C: BF850145
	v_mov_b32_e32 v8, v1                                       // 000000007A50: 7E100301
	v_mov_b32_e32 v9, v1                                       // 000000007A54: 7E120301
	s_mov_b32 s60, s6                                          // 000000007A58: BEBC0006
	s_mov_b32 s61, s6                                          // 000000007A5C: BEBD0006
	v_pk_mul_f32 v[4:5], v[48:49], v[48:49]                    // 000000007A60: D3B14004 18026130
	v_pk_mul_f32 v[6:7], v[50:51], v[50:51]                    // 000000007A68: D3B14006 18026532
	v_pk_fma_f32 v[4:5], v[4:5], s[78:79], v[8:9]              // 000000007A70: D3B04004 1C209D04
	v_pk_fma_f32 v[6:7], v[6:7], s[78:79], v[8:9]              // 000000007A78: D3B04006 1C209D06
	v_pk_mul_f32 v[4:5], v[4:5], v[48:49]                      // 000000007A80: D3B14004 18026104
	v_pk_mul_f32 v[6:7], v[6:7], v[50:51]                      // 000000007A88: D3B14006 18026506
	v_pk_mul_f32 v[4:5], v[4:5], s[60:61]                      // 000000007A90: D3B14004 18007904
	v_pk_mul_f32 v[6:7], v[6:7], s[60:61]                      // 000000007A98: D3B14006 18007906
	v_exp_f32_e32 v4, v4                                       // 000000007AA0: 7E084104
	v_exp_f32_e32 v5, v5                                       // 000000007AA4: 7E0A4105
	v_exp_f32_e32 v6, v6                                       // 000000007AA8: 7E0C4106
	v_exp_f32_e32 v7, v7                                       // 000000007AAC: 7E0E4107
	v_add_f32_e64 v4, v4, 1.0                                  // 000000007AB0: D1010004 0001E504
	v_add_f32_e64 v5, v5, 1.0                                  // 000000007AB8: D1010005 0001E505
	v_add_f32_e64 v6, v6, 1.0                                  // 000000007AC0: D1010006 0001E506
	v_add_f32_e64 v7, v7, 1.0                                  // 000000007AC8: D1010007 0001E507
	v_rcp_f32_e32 v4, v4                                       // 000000007AD0: 7E084504
	v_rcp_f32_e32 v5, v5                                       // 000000007AD4: 7E0A4505
	v_rcp_f32_e32 v6, v6                                       // 000000007AD8: 7E0C4506
	v_rcp_f32_e32 v7, v7                                       // 000000007ADC: 7E0E4507
	v_mul_f32_e32 v48, v48, v4                                 // 000000007AE0: 0A600930
	v_mul_f32_e32 v49, v49, v5                                 // 000000007AE4: 0A620B31
	v_mul_f32_e32 v50, v50, v6                                 // 000000007AE8: 0A640D32
	v_mul_f32_e32 v51, v51, v7                                 // 000000007AEC: 0A660F33
	v_mul_f32_e32 v48, v48, v80                                // 000000007AF0: 0A60A130
	v_mul_f32_e32 v49, v49, v81                                // 000000007AF4: 0A62A331
	v_mul_f32_e32 v50, v50, v82                                // 000000007AF8: 0A64A532
	v_mul_f32_e32 v51, v51, v83                                // 000000007AFC: 0A66A733
	v_pk_mul_f32 v[4:5], v[52:53], v[52:53]                    // 000000007B00: D3B14004 18026934
	v_pk_mul_f32 v[6:7], v[54:55], v[54:55]                    // 000000007B08: D3B14006 18026D36
	v_pk_fma_f32 v[4:5], v[4:5], s[78:79], v[8:9]              // 000000007B10: D3B04004 1C209D04
	v_pk_fma_f32 v[6:7], v[6:7], s[78:79], v[8:9]              // 000000007B18: D3B04006 1C209D06
	v_pk_mul_f32 v[4:5], v[4:5], v[52:53]                      // 000000007B20: D3B14004 18026904
	v_pk_mul_f32 v[6:7], v[6:7], v[54:55]                      // 000000007B28: D3B14006 18026D06
	v_pk_mul_f32 v[4:5], v[4:5], s[60:61]                      // 000000007B30: D3B14004 18007904
	v_pk_mul_f32 v[6:7], v[6:7], s[60:61]                      // 000000007B38: D3B14006 18007906
	v_exp_f32_e32 v4, v4                                       // 000000007B40: 7E084104
	v_exp_f32_e32 v5, v5                                       // 000000007B44: 7E0A4105
	v_exp_f32_e32 v6, v6                                       // 000000007B48: 7E0C4106
	v_exp_f32_e32 v7, v7                                       // 000000007B4C: 7E0E4107
	v_add_f32_e64 v4, v4, 1.0                                  // 000000007B50: D1010004 0001E504
	v_add_f32_e64 v5, v5, 1.0                                  // 000000007B58: D1010005 0001E505
	v_add_f32_e64 v6, v6, 1.0                                  // 000000007B60: D1010006 0001E506
	v_add_f32_e64 v7, v7, 1.0                                  // 000000007B68: D1010007 0001E507
	v_rcp_f32_e32 v4, v4                                       // 000000007B70: 7E084504
	v_rcp_f32_e32 v5, v5                                       // 000000007B74: 7E0A4505
	v_rcp_f32_e32 v6, v6                                       // 000000007B78: 7E0C4506
	v_rcp_f32_e32 v7, v7                                       // 000000007B7C: 7E0E4507
	v_mul_f32_e32 v52, v52, v4                                 // 000000007B80: 0A680934
	v_mul_f32_e32 v53, v53, v5                                 // 000000007B84: 0A6A0B35
	v_mul_f32_e32 v54, v54, v6                                 // 000000007B88: 0A6C0D36
	v_mul_f32_e32 v55, v55, v7                                 // 000000007B8C: 0A6E0F37
	v_mul_f32_e32 v52, v52, v84                                // 000000007B90: 0A68A934
	v_mul_f32_e32 v53, v53, v85                                // 000000007B94: 0A6AAB35
	v_mul_f32_e32 v54, v54, v86                                // 000000007B98: 0A6CAD36
	v_mul_f32_e32 v55, v55, v87                                // 000000007B9C: 0A6EAF37
	v_pk_mul_f32 v[4:5], v[56:57], v[56:57]                    // 000000007BA0: D3B14004 18027138
	v_pk_mul_f32 v[6:7], v[58:59], v[58:59]                    // 000000007BA8: D3B14006 1802753A
	v_pk_fma_f32 v[4:5], v[4:5], s[78:79], v[8:9]              // 000000007BB0: D3B04004 1C209D04
	v_pk_fma_f32 v[6:7], v[6:7], s[78:79], v[8:9]              // 000000007BB8: D3B04006 1C209D06
	v_pk_mul_f32 v[4:5], v[4:5], v[56:57]                      // 000000007BC0: D3B14004 18027104
	v_pk_mul_f32 v[6:7], v[6:7], v[58:59]                      // 000000007BC8: D3B14006 18027506
	v_pk_mul_f32 v[4:5], v[4:5], s[60:61]                      // 000000007BD0: D3B14004 18007904
	v_pk_mul_f32 v[6:7], v[6:7], s[60:61]                      // 000000007BD8: D3B14006 18007906
	v_exp_f32_e32 v4, v4                                       // 000000007BE0: 7E084104
	v_exp_f32_e32 v5, v5                                       // 000000007BE4: 7E0A4105
	v_exp_f32_e32 v6, v6                                       // 000000007BE8: 7E0C4106
	v_exp_f32_e32 v7, v7                                       // 000000007BEC: 7E0E4107
	v_add_f32_e64 v4, v4, 1.0                                  // 000000007BF0: D1010004 0001E504
	v_add_f32_e64 v5, v5, 1.0                                  // 000000007BF8: D1010005 0001E505
	v_add_f32_e64 v6, v6, 1.0                                  // 000000007C00: D1010006 0001E506
	v_add_f32_e64 v7, v7, 1.0                                  // 000000007C08: D1010007 0001E507
	v_rcp_f32_e32 v4, v4                                       // 000000007C10: 7E084504
	v_rcp_f32_e32 v5, v5                                       // 000000007C14: 7E0A4505
	v_rcp_f32_e32 v6, v6                                       // 000000007C18: 7E0C4506
	v_rcp_f32_e32 v7, v7                                       // 000000007C1C: 7E0E4507
	v_mul_f32_e32 v56, v56, v4                                 // 000000007C20: 0A700938
	v_mul_f32_e32 v57, v57, v5                                 // 000000007C24: 0A720B39
	v_mul_f32_e32 v58, v58, v6                                 // 000000007C28: 0A740D3A
	v_mul_f32_e32 v59, v59, v7                                 // 000000007C2C: 0A760F3B
	v_mul_f32_e32 v56, v56, v88                                // 000000007C30: 0A70B138
	v_mul_f32_e32 v57, v57, v89                                // 000000007C34: 0A72B339
	v_mul_f32_e32 v58, v58, v90                                // 000000007C38: 0A74B53A
	v_mul_f32_e32 v59, v59, v91                                // 000000007C3C: 0A76B73B
	v_pk_mul_f32 v[4:5], v[60:61], v[60:61]                    // 000000007C40: D3B14004 1802793C
	v_pk_mul_f32 v[6:7], v[62:63], v[62:63]                    // 000000007C48: D3B14006 18027D3E
	v_pk_fma_f32 v[4:5], v[4:5], s[78:79], v[8:9]              // 000000007C50: D3B04004 1C209D04
	v_pk_fma_f32 v[6:7], v[6:7], s[78:79], v[8:9]              // 000000007C58: D3B04006 1C209D06
	v_pk_mul_f32 v[4:5], v[4:5], v[60:61]                      // 000000007C60: D3B14004 18027904
	v_pk_mul_f32 v[6:7], v[6:7], v[62:63]                      // 000000007C68: D3B14006 18027D06
	v_pk_mul_f32 v[4:5], v[4:5], s[60:61]                      // 000000007C70: D3B14004 18007904
	v_pk_mul_f32 v[6:7], v[6:7], s[60:61]                      // 000000007C78: D3B14006 18007906
	v_exp_f32_e32 v4, v4                                       // 000000007C80: 7E084104
	v_exp_f32_e32 v5, v5                                       // 000000007C84: 7E0A4105
	v_exp_f32_e32 v6, v6                                       // 000000007C88: 7E0C4106
	v_exp_f32_e32 v7, v7                                       // 000000007C8C: 7E0E4107
	v_add_f32_e64 v4, v4, 1.0                                  // 000000007C90: D1010004 0001E504
	v_add_f32_e64 v5, v5, 1.0                                  // 000000007C98: D1010005 0001E505
	v_add_f32_e64 v6, v6, 1.0                                  // 000000007CA0: D1010006 0001E506
	v_add_f32_e64 v7, v7, 1.0                                  // 000000007CA8: D1010007 0001E507
	v_rcp_f32_e32 v4, v4                                       // 000000007CB0: 7E084504
	v_rcp_f32_e32 v5, v5                                       // 000000007CB4: 7E0A4505
	v_rcp_f32_e32 v6, v6                                       // 000000007CB8: 7E0C4506
	v_rcp_f32_e32 v7, v7                                       // 000000007CBC: 7E0E4507
	v_mul_f32_e32 v60, v60, v4                                 // 000000007CC0: 0A78093C
	v_mul_f32_e32 v61, v61, v5                                 // 000000007CC4: 0A7A0B3D
	v_mul_f32_e32 v62, v62, v6                                 // 000000007CC8: 0A7C0D3E
	v_mul_f32_e32 v63, v63, v7                                 // 000000007CCC: 0A7E0F3F
	v_mul_f32_e32 v60, v60, v92                                // 000000007CD0: 0A78B93C
	v_mul_f32_e32 v61, v61, v93                                // 000000007CD4: 0A7ABB3D
	v_mul_f32_e32 v62, v62, v94                                // 000000007CD8: 0A7CBD3E
	v_mul_f32_e32 v63, v63, v95                                // 000000007CDC: 0A7EBF3F
	v_pk_mul_f32 v[4:5], v[64:65], v[64:65]                    // 000000007CE0: D3B14004 18028140
	v_pk_mul_f32 v[6:7], v[66:67], v[66:67]                    // 000000007CE8: D3B14006 18028542
	v_pk_fma_f32 v[4:5], v[4:5], s[78:79], v[8:9]              // 000000007CF0: D3B04004 1C209D04
	v_pk_fma_f32 v[6:7], v[6:7], s[78:79], v[8:9]              // 000000007CF8: D3B04006 1C209D06
	v_pk_mul_f32 v[4:5], v[4:5], v[64:65]                      // 000000007D00: D3B14004 18028104
	v_pk_mul_f32 v[6:7], v[6:7], v[66:67]                      // 000000007D08: D3B14006 18028506
	v_pk_mul_f32 v[4:5], v[4:5], s[60:61]                      // 000000007D10: D3B14004 18007904
	v_pk_mul_f32 v[6:7], v[6:7], s[60:61]                      // 000000007D18: D3B14006 18007906
	v_exp_f32_e32 v4, v4                                       // 000000007D20: 7E084104
	v_exp_f32_e32 v5, v5                                       // 000000007D24: 7E0A4105
	v_exp_f32_e32 v6, v6                                       // 000000007D28: 7E0C4106
	v_exp_f32_e32 v7, v7                                       // 000000007D2C: 7E0E4107
	v_add_f32_e64 v4, v4, 1.0                                  // 000000007D30: D1010004 0001E504
	v_add_f32_e64 v5, v5, 1.0                                  // 000000007D38: D1010005 0001E505
	v_add_f32_e64 v6, v6, 1.0                                  // 000000007D40: D1010006 0001E506
	v_add_f32_e64 v7, v7, 1.0                                  // 000000007D48: D1010007 0001E507
	v_rcp_f32_e32 v4, v4                                       // 000000007D50: 7E084504
	v_rcp_f32_e32 v5, v5                                       // 000000007D54: 7E0A4505
	v_rcp_f32_e32 v6, v6                                       // 000000007D58: 7E0C4506
	v_rcp_f32_e32 v7, v7                                       // 000000007D5C: 7E0E4507
	v_mul_f32_e32 v64, v64, v4                                 // 000000007D60: 0A800940
	v_mul_f32_e32 v65, v65, v5                                 // 000000007D64: 0A820B41
	v_mul_f32_e32 v66, v66, v6                                 // 000000007D68: 0A840D42
	v_mul_f32_e32 v67, v67, v7                                 // 000000007D6C: 0A860F43
	v_mul_f32_e32 v64, v64, v96                                // 000000007D70: 0A80C140
	v_mul_f32_e32 v65, v65, v97                                // 000000007D74: 0A82C341
	v_mul_f32_e32 v66, v66, v98                                // 000000007D78: 0A84C542
	v_mul_f32_e32 v67, v67, v99                                // 000000007D7C: 0A86C743
	v_pk_mul_f32 v[4:5], v[68:69], v[68:69]                    // 000000007D80: D3B14004 18028944
	v_pk_mul_f32 v[6:7], v[70:71], v[70:71]                    // 000000007D88: D3B14006 18028D46
	v_pk_fma_f32 v[4:5], v[4:5], s[78:79], v[8:9]              // 000000007D90: D3B04004 1C209D04
	v_pk_fma_f32 v[6:7], v[6:7], s[78:79], v[8:9]              // 000000007D98: D3B04006 1C209D06
	v_pk_mul_f32 v[4:5], v[4:5], v[68:69]                      // 000000007DA0: D3B14004 18028904
	v_pk_mul_f32 v[6:7], v[6:7], v[70:71]                      // 000000007DA8: D3B14006 18028D06
	v_pk_mul_f32 v[4:5], v[4:5], s[60:61]                      // 000000007DB0: D3B14004 18007904
	v_pk_mul_f32 v[6:7], v[6:7], s[60:61]                      // 000000007DB8: D3B14006 18007906
	v_exp_f32_e32 v4, v4                                       // 000000007DC0: 7E084104
	v_exp_f32_e32 v5, v5                                       // 000000007DC4: 7E0A4105
	v_exp_f32_e32 v6, v6                                       // 000000007DC8: 7E0C4106
	v_exp_f32_e32 v7, v7                                       // 000000007DCC: 7E0E4107
	v_add_f32_e64 v4, v4, 1.0                                  // 000000007DD0: D1010004 0001E504
	v_add_f32_e64 v5, v5, 1.0                                  // 000000007DD8: D1010005 0001E505
	v_add_f32_e64 v6, v6, 1.0                                  // 000000007DE0: D1010006 0001E506
	v_add_f32_e64 v7, v7, 1.0                                  // 000000007DE8: D1010007 0001E507
	v_rcp_f32_e32 v4, v4                                       // 000000007DF0: 7E084504
	v_rcp_f32_e32 v5, v5                                       // 000000007DF4: 7E0A4505
	v_rcp_f32_e32 v6, v6                                       // 000000007DF8: 7E0C4506
	v_rcp_f32_e32 v7, v7                                       // 000000007DFC: 7E0E4507
	v_mul_f32_e32 v68, v68, v4                                 // 000000007E00: 0A880944
	v_mul_f32_e32 v69, v69, v5                                 // 000000007E04: 0A8A0B45
	v_mul_f32_e32 v70, v70, v6                                 // 000000007E08: 0A8C0D46
	v_mul_f32_e32 v71, v71, v7                                 // 000000007E0C: 0A8E0F47
	v_mul_f32_e32 v68, v68, v100                               // 000000007E10: 0A88C944
	v_mul_f32_e32 v69, v69, v101                               // 000000007E14: 0A8ACB45
	v_mul_f32_e32 v70, v70, v102                               // 000000007E18: 0A8CCD46
	v_mul_f32_e32 v71, v71, v103                               // 000000007E1C: 0A8ECF47
	v_pk_mul_f32 v[4:5], v[72:73], v[72:73]                    // 000000007E20: D3B14004 18029148
	v_pk_mul_f32 v[6:7], v[74:75], v[74:75]                    // 000000007E28: D3B14006 1802954A
	v_pk_fma_f32 v[4:5], v[4:5], s[78:79], v[8:9]              // 000000007E30: D3B04004 1C209D04
	v_pk_fma_f32 v[6:7], v[6:7], s[78:79], v[8:9]              // 000000007E38: D3B04006 1C209D06
	v_pk_mul_f32 v[4:5], v[4:5], v[72:73]                      // 000000007E40: D3B14004 18029104
	v_pk_mul_f32 v[6:7], v[6:7], v[74:75]                      // 000000007E48: D3B14006 18029506
	v_pk_mul_f32 v[4:5], v[4:5], s[60:61]                      // 000000007E50: D3B14004 18007904
	v_pk_mul_f32 v[6:7], v[6:7], s[60:61]                      // 000000007E58: D3B14006 18007906
	v_exp_f32_e32 v4, v4                                       // 000000007E60: 7E084104
	v_exp_f32_e32 v5, v5                                       // 000000007E64: 7E0A4105
	v_exp_f32_e32 v6, v6                                       // 000000007E68: 7E0C4106
	v_exp_f32_e32 v7, v7                                       // 000000007E6C: 7E0E4107
	v_add_f32_e64 v4, v4, 1.0                                  // 000000007E70: D1010004 0001E504
	v_add_f32_e64 v5, v5, 1.0                                  // 000000007E78: D1010005 0001E505
	v_add_f32_e64 v6, v6, 1.0                                  // 000000007E80: D1010006 0001E506
	v_add_f32_e64 v7, v7, 1.0                                  // 000000007E88: D1010007 0001E507
	v_rcp_f32_e32 v4, v4                                       // 000000007E90: 7E084504
	v_rcp_f32_e32 v5, v5                                       // 000000007E94: 7E0A4505
	v_rcp_f32_e32 v6, v6                                       // 000000007E98: 7E0C4506
	v_rcp_f32_e32 v7, v7                                       // 000000007E9C: 7E0E4507
	v_mul_f32_e32 v72, v72, v4                                 // 000000007EA0: 0A900948
	v_mul_f32_e32 v73, v73, v5                                 // 000000007EA4: 0A920B49
	v_mul_f32_e32 v74, v74, v6                                 // 000000007EA8: 0A940D4A
	v_mul_f32_e32 v75, v75, v7                                 // 000000007EAC: 0A960F4B
	v_mul_f32_e32 v72, v72, v104                               // 000000007EB0: 0A90D148
	v_mul_f32_e32 v73, v73, v105                               // 000000007EB4: 0A92D349
	v_mul_f32_e32 v74, v74, v106                               // 000000007EB8: 0A94D54A
	v_mul_f32_e32 v75, v75, v107                               // 000000007EBC: 0A96D74B
	v_pk_mul_f32 v[4:5], v[76:77], v[76:77]                    // 000000007EC0: D3B14004 1802994C
	v_pk_mul_f32 v[6:7], v[78:79], v[78:79]                    // 000000007EC8: D3B14006 18029D4E
	v_pk_fma_f32 v[4:5], v[4:5], s[78:79], v[8:9]              // 000000007ED0: D3B04004 1C209D04
	v_pk_fma_f32 v[6:7], v[6:7], s[78:79], v[8:9]              // 000000007ED8: D3B04006 1C209D06
	v_pk_mul_f32 v[4:5], v[4:5], v[76:77]                      // 000000007EE0: D3B14004 18029904
	v_pk_mul_f32 v[6:7], v[6:7], v[78:79]                      // 000000007EE8: D3B14006 18029D06
	v_pk_mul_f32 v[4:5], v[4:5], s[60:61]                      // 000000007EF0: D3B14004 18007904
	v_pk_mul_f32 v[6:7], v[6:7], s[60:61]                      // 000000007EF8: D3B14006 18007906
	v_exp_f32_e32 v4, v4                                       // 000000007F00: 7E084104
	v_exp_f32_e32 v5, v5                                       // 000000007F04: 7E0A4105
	v_exp_f32_e32 v6, v6                                       // 000000007F08: 7E0C4106
	v_exp_f32_e32 v7, v7                                       // 000000007F0C: 7E0E4107
	v_add_f32_e64 v4, v4, 1.0                                  // 000000007F10: D1010004 0001E504
	v_add_f32_e64 v5, v5, 1.0                                  // 000000007F18: D1010005 0001E505
	v_add_f32_e64 v6, v6, 1.0                                  // 000000007F20: D1010006 0001E506
	v_add_f32_e64 v7, v7, 1.0                                  // 000000007F28: D1010007 0001E507
	v_rcp_f32_e32 v4, v4                                       // 000000007F30: 7E084504
	v_rcp_f32_e32 v5, v5                                       // 000000007F34: 7E0A4505
	v_rcp_f32_e32 v6, v6                                       // 000000007F38: 7E0C4506
	v_rcp_f32_e32 v7, v7                                       // 000000007F3C: 7E0E4507
	v_mul_f32_e32 v76, v76, v4                                 // 000000007F40: 0A98094C
	v_mul_f32_e32 v77, v77, v5                                 // 000000007F44: 0A9A0B4D
	v_mul_f32_e32 v78, v78, v6                                 // 000000007F48: 0A9C0D4E
	v_mul_f32_e32 v79, v79, v7                                 // 000000007F4C: 0A9E0F4F
	v_mul_f32_e32 v76, v76, v108                               // 000000007F50: 0A98D94C
	v_mul_f32_e32 v77, v77, v109                               // 000000007F54: 0A9ADB4D
	v_mul_f32_e32 v78, v78, v110                               // 000000007F58: 0A9CDD4E
	v_mul_f32_e32 v79, v79, v111                               // 000000007F5C: 0A9EDF4F
	s_branch label_165C                                        // 000000007F60: BF820100

0000000000007f64 <label_155C>:
	v_mul_f32_e64 v4, -v48, s6                                 // 000000007F64: D1050004 20000D30
	v_mul_f32_e64 v5, -v49, s6                                 // 000000007F6C: D1050005 20000D31
	v_mul_f32_e64 v6, -v50, s6                                 // 000000007F74: D1050006 20000D32
	v_mul_f32_e64 v7, -v51, s6                                 // 000000007F7C: D1050007 20000D33
	v_exp_f32_e32 v4, v4                                       // 000000007F84: 7E084104
	v_exp_f32_e32 v5, v5                                       // 000000007F88: 7E0A4105
	v_exp_f32_e32 v6, v6                                       // 000000007F8C: 7E0C4106
	v_exp_f32_e32 v7, v7                                       // 000000007F90: 7E0E4107
	v_add_f32_e64 v4, v4, 1.0                                  // 000000007F94: D1010004 0001E504
	v_add_f32_e64 v5, v5, 1.0                                  // 000000007F9C: D1010005 0001E505
	v_add_f32_e64 v6, v6, 1.0                                  // 000000007FA4: D1010006 0001E506
	v_add_f32_e64 v7, v7, 1.0                                  // 000000007FAC: D1010007 0001E507
	v_rcp_f32_e32 v4, v4                                       // 000000007FB4: 7E084504
	v_rcp_f32_e32 v5, v5                                       // 000000007FB8: 7E0A4505
	v_rcp_f32_e32 v6, v6                                       // 000000007FBC: 7E0C4506
	v_rcp_f32_e32 v7, v7                                       // 000000007FC0: 7E0E4507
	v_mul_f32_e32 v48, v48, v4                                 // 000000007FC4: 0A600930
	v_mul_f32_e32 v49, v49, v5                                 // 000000007FC8: 0A620B31
	v_mul_f32_e32 v50, v50, v6                                 // 000000007FCC: 0A640D32
	v_mul_f32_e32 v51, v51, v7                                 // 000000007FD0: 0A660F33
	v_mul_f32_e32 v48, v48, v80                                // 000000007FD4: 0A60A130
	v_mul_f32_e32 v49, v49, v81                                // 000000007FD8: 0A62A331
	v_mul_f32_e32 v50, v50, v82                                // 000000007FDC: 0A64A532
	v_mul_f32_e32 v51, v51, v83                                // 000000007FE0: 0A66A733
	v_mul_f32_e64 v4, -v52, s6                                 // 000000007FE4: D1050004 20000D34
	v_mul_f32_e64 v5, -v53, s6                                 // 000000007FEC: D1050005 20000D35
	v_mul_f32_e64 v6, -v54, s6                                 // 000000007FF4: D1050006 20000D36
	v_mul_f32_e64 v7, -v55, s6                                 // 000000007FFC: D1050007 20000D37
	v_exp_f32_e32 v4, v4                                       // 000000008004: 7E084104
	v_exp_f32_e32 v5, v5                                       // 000000008008: 7E0A4105
	v_exp_f32_e32 v6, v6                                       // 00000000800C: 7E0C4106
	v_exp_f32_e32 v7, v7                                       // 000000008010: 7E0E4107
	v_add_f32_e64 v4, v4, 1.0                                  // 000000008014: D1010004 0001E504
	v_add_f32_e64 v5, v5, 1.0                                  // 00000000801C: D1010005 0001E505
	v_add_f32_e64 v6, v6, 1.0                                  // 000000008024: D1010006 0001E506
	v_add_f32_e64 v7, v7, 1.0                                  // 00000000802C: D1010007 0001E507
	v_rcp_f32_e32 v4, v4                                       // 000000008034: 7E084504
	v_rcp_f32_e32 v5, v5                                       // 000000008038: 7E0A4505
	v_rcp_f32_e32 v6, v6                                       // 00000000803C: 7E0C4506
	v_rcp_f32_e32 v7, v7                                       // 000000008040: 7E0E4507
	v_mul_f32_e32 v52, v52, v4                                 // 000000008044: 0A680934
	v_mul_f32_e32 v53, v53, v5                                 // 000000008048: 0A6A0B35
	v_mul_f32_e32 v54, v54, v6                                 // 00000000804C: 0A6C0D36
	v_mul_f32_e32 v55, v55, v7                                 // 000000008050: 0A6E0F37
	v_mul_f32_e32 v52, v52, v84                                // 000000008054: 0A68A934
	v_mul_f32_e32 v53, v53, v85                                // 000000008058: 0A6AAB35
	v_mul_f32_e32 v54, v54, v86                                // 00000000805C: 0A6CAD36
	v_mul_f32_e32 v55, v55, v87                                // 000000008060: 0A6EAF37
	v_mul_f32_e64 v4, -v56, s6                                 // 000000008064: D1050004 20000D38
	v_mul_f32_e64 v5, -v57, s6                                 // 00000000806C: D1050005 20000D39
	v_mul_f32_e64 v6, -v58, s6                                 // 000000008074: D1050006 20000D3A
	v_mul_f32_e64 v7, -v59, s6                                 // 00000000807C: D1050007 20000D3B
	v_exp_f32_e32 v4, v4                                       // 000000008084: 7E084104
	v_exp_f32_e32 v5, v5                                       // 000000008088: 7E0A4105
	v_exp_f32_e32 v6, v6                                       // 00000000808C: 7E0C4106
	v_exp_f32_e32 v7, v7                                       // 000000008090: 7E0E4107
	v_add_f32_e64 v4, v4, 1.0                                  // 000000008094: D1010004 0001E504
	v_add_f32_e64 v5, v5, 1.0                                  // 00000000809C: D1010005 0001E505
	v_add_f32_e64 v6, v6, 1.0                                  // 0000000080A4: D1010006 0001E506
	v_add_f32_e64 v7, v7, 1.0                                  // 0000000080AC: D1010007 0001E507
	v_rcp_f32_e32 v4, v4                                       // 0000000080B4: 7E084504
	v_rcp_f32_e32 v5, v5                                       // 0000000080B8: 7E0A4505
	v_rcp_f32_e32 v6, v6                                       // 0000000080BC: 7E0C4506
	v_rcp_f32_e32 v7, v7                                       // 0000000080C0: 7E0E4507
	v_mul_f32_e32 v56, v56, v4                                 // 0000000080C4: 0A700938
	v_mul_f32_e32 v57, v57, v5                                 // 0000000080C8: 0A720B39
	v_mul_f32_e32 v58, v58, v6                                 // 0000000080CC: 0A740D3A
	v_mul_f32_e32 v59, v59, v7                                 // 0000000080D0: 0A760F3B
	v_mul_f32_e32 v56, v56, v88                                // 0000000080D4: 0A70B138
	v_mul_f32_e32 v57, v57, v89                                // 0000000080D8: 0A72B339
	v_mul_f32_e32 v58, v58, v90                                // 0000000080DC: 0A74B53A
	v_mul_f32_e32 v59, v59, v91                                // 0000000080E0: 0A76B73B
	v_mul_f32_e64 v4, -v60, s6                                 // 0000000080E4: D1050004 20000D3C
	v_mul_f32_e64 v5, -v61, s6                                 // 0000000080EC: D1050005 20000D3D
	v_mul_f32_e64 v6, -v62, s6                                 // 0000000080F4: D1050006 20000D3E
	v_mul_f32_e64 v7, -v63, s6                                 // 0000000080FC: D1050007 20000D3F
	v_exp_f32_e32 v4, v4                                       // 000000008104: 7E084104
	v_exp_f32_e32 v5, v5                                       // 000000008108: 7E0A4105
	v_exp_f32_e32 v6, v6                                       // 00000000810C: 7E0C4106
	v_exp_f32_e32 v7, v7                                       // 000000008110: 7E0E4107
	v_add_f32_e64 v4, v4, 1.0                                  // 000000008114: D1010004 0001E504
	v_add_f32_e64 v5, v5, 1.0                                  // 00000000811C: D1010005 0001E505
	v_add_f32_e64 v6, v6, 1.0                                  // 000000008124: D1010006 0001E506
	v_add_f32_e64 v7, v7, 1.0                                  // 00000000812C: D1010007 0001E507
	v_rcp_f32_e32 v4, v4                                       // 000000008134: 7E084504
	v_rcp_f32_e32 v5, v5                                       // 000000008138: 7E0A4505
	v_rcp_f32_e32 v6, v6                                       // 00000000813C: 7E0C4506
	v_rcp_f32_e32 v7, v7                                       // 000000008140: 7E0E4507
	v_mul_f32_e32 v60, v60, v4                                 // 000000008144: 0A78093C
	v_mul_f32_e32 v61, v61, v5                                 // 000000008148: 0A7A0B3D
	v_mul_f32_e32 v62, v62, v6                                 // 00000000814C: 0A7C0D3E
	v_mul_f32_e32 v63, v63, v7                                 // 000000008150: 0A7E0F3F
	v_mul_f32_e32 v60, v60, v92                                // 000000008154: 0A78B93C
	v_mul_f32_e32 v61, v61, v93                                // 000000008158: 0A7ABB3D
	v_mul_f32_e32 v62, v62, v94                                // 00000000815C: 0A7CBD3E
	v_mul_f32_e32 v63, v63, v95                                // 000000008160: 0A7EBF3F
	v_mul_f32_e64 v4, -v64, s6                                 // 000000008164: D1050004 20000D40
	v_mul_f32_e64 v5, -v65, s6                                 // 00000000816C: D1050005 20000D41
	v_mul_f32_e64 v6, -v66, s6                                 // 000000008174: D1050006 20000D42
	v_mul_f32_e64 v7, -v67, s6                                 // 00000000817C: D1050007 20000D43
	v_exp_f32_e32 v4, v4                                       // 000000008184: 7E084104
	v_exp_f32_e32 v5, v5                                       // 000000008188: 7E0A4105
	v_exp_f32_e32 v6, v6                                       // 00000000818C: 7E0C4106
	v_exp_f32_e32 v7, v7                                       // 000000008190: 7E0E4107
	v_add_f32_e64 v4, v4, 1.0                                  // 000000008194: D1010004 0001E504
	v_add_f32_e64 v5, v5, 1.0                                  // 00000000819C: D1010005 0001E505
	v_add_f32_e64 v6, v6, 1.0                                  // 0000000081A4: D1010006 0001E506
	v_add_f32_e64 v7, v7, 1.0                                  // 0000000081AC: D1010007 0001E507
	v_rcp_f32_e32 v4, v4                                       // 0000000081B4: 7E084504
	v_rcp_f32_e32 v5, v5                                       // 0000000081B8: 7E0A4505
	v_rcp_f32_e32 v6, v6                                       // 0000000081BC: 7E0C4506
	v_rcp_f32_e32 v7, v7                                       // 0000000081C0: 7E0E4507
	v_mul_f32_e32 v64, v64, v4                                 // 0000000081C4: 0A800940
	v_mul_f32_e32 v65, v65, v5                                 // 0000000081C8: 0A820B41
	v_mul_f32_e32 v66, v66, v6                                 // 0000000081CC: 0A840D42
	v_mul_f32_e32 v67, v67, v7                                 // 0000000081D0: 0A860F43
	v_mul_f32_e32 v64, v64, v96                                // 0000000081D4: 0A80C140
	v_mul_f32_e32 v65, v65, v97                                // 0000000081D8: 0A82C341
	v_mul_f32_e32 v66, v66, v98                                // 0000000081DC: 0A84C542
	v_mul_f32_e32 v67, v67, v99                                // 0000000081E0: 0A86C743
	v_mul_f32_e64 v4, -v68, s6                                 // 0000000081E4: D1050004 20000D44
	v_mul_f32_e64 v5, -v69, s6                                 // 0000000081EC: D1050005 20000D45
	v_mul_f32_e64 v6, -v70, s6                                 // 0000000081F4: D1050006 20000D46
	v_mul_f32_e64 v7, -v71, s6                                 // 0000000081FC: D1050007 20000D47
	v_exp_f32_e32 v4, v4                                       // 000000008204: 7E084104
	v_exp_f32_e32 v5, v5                                       // 000000008208: 7E0A4105
	v_exp_f32_e32 v6, v6                                       // 00000000820C: 7E0C4106
	v_exp_f32_e32 v7, v7                                       // 000000008210: 7E0E4107
	v_add_f32_e64 v4, v4, 1.0                                  // 000000008214: D1010004 0001E504
	v_add_f32_e64 v5, v5, 1.0                                  // 00000000821C: D1010005 0001E505
	v_add_f32_e64 v6, v6, 1.0                                  // 000000008224: D1010006 0001E506
	v_add_f32_e64 v7, v7, 1.0                                  // 00000000822C: D1010007 0001E507
	v_rcp_f32_e32 v4, v4                                       // 000000008234: 7E084504
	v_rcp_f32_e32 v5, v5                                       // 000000008238: 7E0A4505
	v_rcp_f32_e32 v6, v6                                       // 00000000823C: 7E0C4506
	v_rcp_f32_e32 v7, v7                                       // 000000008240: 7E0E4507
	v_mul_f32_e32 v68, v68, v4                                 // 000000008244: 0A880944
	v_mul_f32_e32 v69, v69, v5                                 // 000000008248: 0A8A0B45
	v_mul_f32_e32 v70, v70, v6                                 // 00000000824C: 0A8C0D46
	v_mul_f32_e32 v71, v71, v7                                 // 000000008250: 0A8E0F47
	v_mul_f32_e32 v68, v68, v100                               // 000000008254: 0A88C944
	v_mul_f32_e32 v69, v69, v101                               // 000000008258: 0A8ACB45
	v_mul_f32_e32 v70, v70, v102                               // 00000000825C: 0A8CCD46
	v_mul_f32_e32 v71, v71, v103                               // 000000008260: 0A8ECF47
	v_mul_f32_e64 v4, -v72, s6                                 // 000000008264: D1050004 20000D48
	v_mul_f32_e64 v5, -v73, s6                                 // 00000000826C: D1050005 20000D49
	v_mul_f32_e64 v6, -v74, s6                                 // 000000008274: D1050006 20000D4A
	v_mul_f32_e64 v7, -v75, s6                                 // 00000000827C: D1050007 20000D4B
	v_exp_f32_e32 v4, v4                                       // 000000008284: 7E084104
	v_exp_f32_e32 v5, v5                                       // 000000008288: 7E0A4105
	v_exp_f32_e32 v6, v6                                       // 00000000828C: 7E0C4106
	v_exp_f32_e32 v7, v7                                       // 000000008290: 7E0E4107
	v_add_f32_e64 v4, v4, 1.0                                  // 000000008294: D1010004 0001E504
	v_add_f32_e64 v5, v5, 1.0                                  // 00000000829C: D1010005 0001E505
	v_add_f32_e64 v6, v6, 1.0                                  // 0000000082A4: D1010006 0001E506
	v_add_f32_e64 v7, v7, 1.0                                  // 0000000082AC: D1010007 0001E507
	v_rcp_f32_e32 v4, v4                                       // 0000000082B4: 7E084504
	v_rcp_f32_e32 v5, v5                                       // 0000000082B8: 7E0A4505
	v_rcp_f32_e32 v6, v6                                       // 0000000082BC: 7E0C4506
	v_rcp_f32_e32 v7, v7                                       // 0000000082C0: 7E0E4507
	v_mul_f32_e32 v72, v72, v4                                 // 0000000082C4: 0A900948
	v_mul_f32_e32 v73, v73, v5                                 // 0000000082C8: 0A920B49
	v_mul_f32_e32 v74, v74, v6                                 // 0000000082CC: 0A940D4A
	v_mul_f32_e32 v75, v75, v7                                 // 0000000082D0: 0A960F4B
	v_mul_f32_e32 v72, v72, v104                               // 0000000082D4: 0A90D148
	v_mul_f32_e32 v73, v73, v105                               // 0000000082D8: 0A92D349
	v_mul_f32_e32 v74, v74, v106                               // 0000000082DC: 0A94D54A
	v_mul_f32_e32 v75, v75, v107                               // 0000000082E0: 0A96D74B
	v_mul_f32_e64 v4, -v76, s6                                 // 0000000082E4: D1050004 20000D4C
	v_mul_f32_e64 v5, -v77, s6                                 // 0000000082EC: D1050005 20000D4D
	v_mul_f32_e64 v6, -v78, s6                                 // 0000000082F4: D1050006 20000D4E
	v_mul_f32_e64 v7, -v79, s6                                 // 0000000082FC: D1050007 20000D4F
	v_exp_f32_e32 v4, v4                                       // 000000008304: 7E084104
	v_exp_f32_e32 v5, v5                                       // 000000008308: 7E0A4105
	v_exp_f32_e32 v6, v6                                       // 00000000830C: 7E0C4106
	v_exp_f32_e32 v7, v7                                       // 000000008310: 7E0E4107
	v_add_f32_e64 v4, v4, 1.0                                  // 000000008314: D1010004 0001E504
	v_add_f32_e64 v5, v5, 1.0                                  // 00000000831C: D1010005 0001E505
	v_add_f32_e64 v6, v6, 1.0                                  // 000000008324: D1010006 0001E506
	v_add_f32_e64 v7, v7, 1.0                                  // 00000000832C: D1010007 0001E507
	v_rcp_f32_e32 v4, v4                                       // 000000008334: 7E084504
	v_rcp_f32_e32 v5, v5                                       // 000000008338: 7E0A4505
	v_rcp_f32_e32 v6, v6                                       // 00000000833C: 7E0C4506
	v_rcp_f32_e32 v7, v7                                       // 000000008340: 7E0E4507
	v_mul_f32_e32 v76, v76, v4                                 // 000000008344: 0A98094C
	v_mul_f32_e32 v77, v77, v5                                 // 000000008348: 0A9A0B4D
	v_mul_f32_e32 v78, v78, v6                                 // 00000000834C: 0A9C0D4E
	v_mul_f32_e32 v79, v79, v7                                 // 000000008350: 0A9E0F4F
	v_mul_f32_e32 v76, v76, v108                               // 000000008354: 0A98D94C
	v_mul_f32_e32 v77, v77, v109                               // 000000008358: 0A9ADB4D
	v_mul_f32_e32 v78, v78, v110                               // 00000000835C: 0A9CDD4E
	v_mul_f32_e32 v79, v79, v111                               // 000000008360: 0A9EDF4F

0000000000008364 <label_165C>:
	v_cmp_u_f32_e64 s[46:47], v48, v48                         // 000000008364: D048002E 00026130
	v_add3_u32 v16, v48, v19, 1                                // 00000000836C: D1FF0010 02062730
	v_cndmask_b32_e64 v4, v16, v18, s[46:47]                   // 000000008374: D1000004 00BA2510
	v_cmp_u_f32_e64 s[46:47], v49, v49                         // 00000000837C: D048002E 00026331
	v_add3_u32 v16, v49, v19, 1                                // 000000008384: D1FF0010 02062731
	v_cndmask_b32_e64 v5, v16, v18, s[46:47]                   // 00000000838C: D1000005 00BA2510
	v_perm_b32 v48, v5, v4, s52                                // 000000008394: D1ED0030 00D20905
	v_cmp_u_f32_e64 s[46:47], v50, v50                         // 00000000839C: D048002E 00026532
	v_add3_u32 v16, v50, v19, 1                                // 0000000083A4: D1FF0010 02062732
	v_cndmask_b32_e64 v4, v16, v18, s[46:47]                   // 0000000083AC: D1000004 00BA2510
	v_cmp_u_f32_e64 s[46:47], v51, v51                         // 0000000083B4: D048002E 00026733
	v_add3_u32 v16, v51, v19, 1                                // 0000000083BC: D1FF0010 02062733
	v_cndmask_b32_e64 v5, v16, v18, s[46:47]                   // 0000000083C4: D1000005 00BA2510
	v_perm_b32 v49, v5, v4, s52                                // 0000000083CC: D1ED0031 00D20905
	v_cmp_u_f32_e64 s[46:47], v52, v52                         // 0000000083D4: D048002E 00026934
	v_add3_u32 v16, v52, v19, 1                                // 0000000083DC: D1FF0010 02062734
	v_cndmask_b32_e64 v4, v16, v18, s[46:47]                   // 0000000083E4: D1000004 00BA2510
	v_cmp_u_f32_e64 s[46:47], v53, v53                         // 0000000083EC: D048002E 00026B35
	v_add3_u32 v16, v53, v19, 1                                // 0000000083F4: D1FF0010 02062735
	v_cndmask_b32_e64 v5, v16, v18, s[46:47]                   // 0000000083FC: D1000005 00BA2510
	v_perm_b32 v50, v5, v4, s52                                // 000000008404: D1ED0032 00D20905
	v_cmp_u_f32_e64 s[46:47], v54, v54                         // 00000000840C: D048002E 00026D36
	v_add3_u32 v16, v54, v19, 1                                // 000000008414: D1FF0010 02062736
	v_cndmask_b32_e64 v4, v16, v18, s[46:47]                   // 00000000841C: D1000004 00BA2510
	v_cmp_u_f32_e64 s[46:47], v55, v55                         // 000000008424: D048002E 00026F37
	v_add3_u32 v16, v55, v19, 1                                // 00000000842C: D1FF0010 02062737
	v_cndmask_b32_e64 v5, v16, v18, s[46:47]                   // 000000008434: D1000005 00BA2510
	v_perm_b32 v51, v5, v4, s52                                // 00000000843C: D1ED0033 00D20905
	v_cmp_u_f32_e64 s[46:47], v56, v56                         // 000000008444: D048002E 00027138
	v_add3_u32 v16, v56, v19, 1                                // 00000000844C: D1FF0010 02062738
	v_cndmask_b32_e64 v4, v16, v18, s[46:47]                   // 000000008454: D1000004 00BA2510
	v_cmp_u_f32_e64 s[46:47], v57, v57                         // 00000000845C: D048002E 00027339
	v_add3_u32 v16, v57, v19, 1                                // 000000008464: D1FF0010 02062739
	v_cndmask_b32_e64 v5, v16, v18, s[46:47]                   // 00000000846C: D1000005 00BA2510
	v_perm_b32 v52, v5, v4, s52                                // 000000008474: D1ED0034 00D20905
	v_cmp_u_f32_e64 s[46:47], v58, v58                         // 00000000847C: D048002E 0002753A
	v_add3_u32 v16, v58, v19, 1                                // 000000008484: D1FF0010 0206273A
	v_cndmask_b32_e64 v4, v16, v18, s[46:47]                   // 00000000848C: D1000004 00BA2510
	v_cmp_u_f32_e64 s[46:47], v59, v59                         // 000000008494: D048002E 0002773B
	v_add3_u32 v16, v59, v19, 1                                // 00000000849C: D1FF0010 0206273B
	v_cndmask_b32_e64 v5, v16, v18, s[46:47]                   // 0000000084A4: D1000005 00BA2510
	v_perm_b32 v53, v5, v4, s52                                // 0000000084AC: D1ED0035 00D20905
	v_cmp_u_f32_e64 s[46:47], v60, v60                         // 0000000084B4: D048002E 0002793C
	v_add3_u32 v16, v60, v19, 1                                // 0000000084BC: D1FF0010 0206273C
	v_cndmask_b32_e64 v4, v16, v18, s[46:47]                   // 0000000084C4: D1000004 00BA2510
	v_cmp_u_f32_e64 s[46:47], v61, v61                         // 0000000084CC: D048002E 00027B3D
	v_add3_u32 v16, v61, v19, 1                                // 0000000084D4: D1FF0010 0206273D
	v_cndmask_b32_e64 v5, v16, v18, s[46:47]                   // 0000000084DC: D1000005 00BA2510
	v_perm_b32 v54, v5, v4, s52                                // 0000000084E4: D1ED0036 00D20905
	v_cmp_u_f32_e64 s[46:47], v62, v62                         // 0000000084EC: D048002E 00027D3E
	v_add3_u32 v16, v62, v19, 1                                // 0000000084F4: D1FF0010 0206273E
	v_cndmask_b32_e64 v4, v16, v18, s[46:47]                   // 0000000084FC: D1000004 00BA2510
	v_cmp_u_f32_e64 s[46:47], v63, v63                         // 000000008504: D048002E 00027F3F
	v_add3_u32 v16, v63, v19, 1                                // 00000000850C: D1FF0010 0206273F
	v_cndmask_b32_e64 v5, v16, v18, s[46:47]                   // 000000008514: D1000005 00BA2510
	v_perm_b32 v55, v5, v4, s52                                // 00000000851C: D1ED0037 00D20905
	v_cmp_u_f32_e64 s[46:47], v64, v64                         // 000000008524: D048002E 00028140
	v_add3_u32 v16, v64, v19, 1                                // 00000000852C: D1FF0010 02062740
	v_cndmask_b32_e64 v4, v16, v18, s[46:47]                   // 000000008534: D1000004 00BA2510
	v_cmp_u_f32_e64 s[46:47], v65, v65                         // 00000000853C: D048002E 00028341
	v_add3_u32 v16, v65, v19, 1                                // 000000008544: D1FF0010 02062741
	v_cndmask_b32_e64 v5, v16, v18, s[46:47]                   // 00000000854C: D1000005 00BA2510
	v_perm_b32 v56, v5, v4, s52                                // 000000008554: D1ED0038 00D20905
	v_cmp_u_f32_e64 s[46:47], v66, v66                         // 00000000855C: D048002E 00028542
	v_add3_u32 v16, v66, v19, 1                                // 000000008564: D1FF0010 02062742
	v_cndmask_b32_e64 v4, v16, v18, s[46:47]                   // 00000000856C: D1000004 00BA2510
	v_cmp_u_f32_e64 s[46:47], v67, v67                         // 000000008574: D048002E 00028743
	v_add3_u32 v16, v67, v19, 1                                // 00000000857C: D1FF0010 02062743
	v_cndmask_b32_e64 v5, v16, v18, s[46:47]                   // 000000008584: D1000005 00BA2510
	v_perm_b32 v57, v5, v4, s52                                // 00000000858C: D1ED0039 00D20905
	v_cmp_u_f32_e64 s[46:47], v68, v68                         // 000000008594: D048002E 00028944
	v_add3_u32 v16, v68, v19, 1                                // 00000000859C: D1FF0010 02062744
	v_cndmask_b32_e64 v4, v16, v18, s[46:47]                   // 0000000085A4: D1000004 00BA2510
	v_cmp_u_f32_e64 s[46:47], v69, v69                         // 0000000085AC: D048002E 00028B45
	v_add3_u32 v16, v69, v19, 1                                // 0000000085B4: D1FF0010 02062745
	v_cndmask_b32_e64 v5, v16, v18, s[46:47]                   // 0000000085BC: D1000005 00BA2510
	v_perm_b32 v58, v5, v4, s52                                // 0000000085C4: D1ED003A 00D20905
	v_cmp_u_f32_e64 s[46:47], v70, v70                         // 0000000085CC: D048002E 00028D46
	v_add3_u32 v16, v70, v19, 1                                // 0000000085D4: D1FF0010 02062746
	v_cndmask_b32_e64 v4, v16, v18, s[46:47]                   // 0000000085DC: D1000004 00BA2510
	v_cmp_u_f32_e64 s[46:47], v71, v71                         // 0000000085E4: D048002E 00028F47
	v_add3_u32 v16, v71, v19, 1                                // 0000000085EC: D1FF0010 02062747
	v_cndmask_b32_e64 v5, v16, v18, s[46:47]                   // 0000000085F4: D1000005 00BA2510
	v_perm_b32 v59, v5, v4, s52                                // 0000000085FC: D1ED003B 00D20905
	v_cmp_u_f32_e64 s[46:47], v72, v72                         // 000000008604: D048002E 00029148
	v_add3_u32 v16, v72, v19, 1                                // 00000000860C: D1FF0010 02062748
	v_cndmask_b32_e64 v4, v16, v18, s[46:47]                   // 000000008614: D1000004 00BA2510
	v_cmp_u_f32_e64 s[46:47], v73, v73                         // 00000000861C: D048002E 00029349
	v_add3_u32 v16, v73, v19, 1                                // 000000008624: D1FF0010 02062749
	v_cndmask_b32_e64 v5, v16, v18, s[46:47]                   // 00000000862C: D1000005 00BA2510
	v_perm_b32 v60, v5, v4, s52                                // 000000008634: D1ED003C 00D20905
	v_cmp_u_f32_e64 s[46:47], v74, v74                         // 00000000863C: D048002E 0002954A
	v_add3_u32 v16, v74, v19, 1                                // 000000008644: D1FF0010 0206274A
	v_cndmask_b32_e64 v4, v16, v18, s[46:47]                   // 00000000864C: D1000004 00BA2510
	v_cmp_u_f32_e64 s[46:47], v75, v75                         // 000000008654: D048002E 0002974B
	v_add3_u32 v16, v75, v19, 1                                // 00000000865C: D1FF0010 0206274B
	v_cndmask_b32_e64 v5, v16, v18, s[46:47]                   // 000000008664: D1000005 00BA2510
	v_perm_b32 v61, v5, v4, s52                                // 00000000866C: D1ED003D 00D20905
	v_cmp_u_f32_e64 s[46:47], v76, v76                         // 000000008674: D048002E 0002994C
	v_add3_u32 v16, v76, v19, 1                                // 00000000867C: D1FF0010 0206274C
	v_cndmask_b32_e64 v4, v16, v18, s[46:47]                   // 000000008684: D1000004 00BA2510
	v_cmp_u_f32_e64 s[46:47], v77, v77                         // 00000000868C: D048002E 00029B4D
	v_add3_u32 v16, v77, v19, 1                                // 000000008694: D1FF0010 0206274D
	v_cndmask_b32_e64 v5, v16, v18, s[46:47]                   // 00000000869C: D1000005 00BA2510
	v_perm_b32 v62, v5, v4, s52                                // 0000000086A4: D1ED003E 00D20905
	v_cmp_u_f32_e64 s[46:47], v78, v78                         // 0000000086AC: D048002E 00029D4E
	v_add3_u32 v16, v78, v19, 1                                // 0000000086B4: D1FF0010 0206274E
	v_cndmask_b32_e64 v4, v16, v18, s[46:47]                   // 0000000086BC: D1000004 00BA2510
	v_cmp_u_f32_e64 s[46:47], v79, v79                         // 0000000086C4: D048002E 00029F4F
	v_add3_u32 v16, v79, v19, 1                                // 0000000086CC: D1FF0010 0206274F
	v_cndmask_b32_e64 v5, v16, v18, s[46:47]                   // 0000000086D4: D1000005 00BA2510
	v_perm_b32 v63, v5, v4, s52                                // 0000000086DC: D1ED003F 00D20905
	ds_write_b64 v20, v[48:49]                                 // 0000000086E4: D89A0000 00003014
	ds_write_b64 v20, v[50:51] offset:2176                     // 0000000086EC: D89A0880 00003214
	ds_write_b64 v20, v[52:53] offset:4352                     // 0000000086F4: D89A1100 00003414
	ds_write_b64 v20, v[54:55] offset:6528                     // 0000000086FC: D89A1980 00003614
	ds_write_b64 v20, v[56:57] offset:8704                     // 000000008704: D89A2200 00003814
	ds_write_b64 v20, v[58:59] offset:10880                    // 00000000870C: D89A2A80 00003A14
	ds_write_b64 v20, v[60:61] offset:13056                    // 000000008714: D89A3300 00003C14
	ds_write_b64 v20, v[62:63] offset:15232                    // 00000000871C: D89A3B80 00003E14
	v_lshrrev_b32_e32 v4, 5, v0                                // 000000008724: 20080085
	v_xor_b32_e32 v5, 1, v4                                    // 000000008728: 2A0A0881
	s_mul_i32 s60, s65, 2                                      // 00000000872C: 923C8241
	s_cmp_eq_u32 s88, 0                                        // 000000008730: BF068058
	s_cselect_b32 s61, 1, 4                                    // 000000008734: 853D8481
	s_mul_i32 s60, s61, s60                                    // 000000008738: 923C3C3D
	v_readlane_b32 s82, v3, 0                                  // 00000000873C: D2890052 00010103
	s_lshr_b32 s61, s82, 24                                    // 000000008744: 8F3D9852
	s_and_b32 s82, s82, 0xffffff                               // 000000008748: 8652FF52 00FFFFFF
	s_mul_i32 s82, s82, s71                                    // 000000008750: 92524752
	s_mul_i32 s61, s60, s61                                    // 000000008754: 923D3D3C
	s_add_u32 s82, s82, s61                                    // 000000008758: 80523D52
	v_mul_lo_u32 v6, v5, s82                                   // 00000000875C: D2850006 0000A505
	v_readlane_b32 s82, v3, 1                                  // 000000008764: D2890052 00010303
	s_lshr_b32 s61, s82, 24                                    // 00000000876C: 8F3D9852
	s_and_b32 s82, s82, 0xffffff                               // 000000008770: 8652FF52 00FFFFFF
	s_mul_i32 s82, s82, s71                                    // 000000008778: 92524752
	s_mul_i32 s61, s60, s61                                    // 00000000877C: 923D3D3C
	s_add_u32 s82, s82, s61                                    // 000000008780: 80523D52
	v_mul_lo_u32 v7, v4, s82                                   // 000000008784: D2850007 0000A504
	v_add_u32_e32 v35, v6, v7                                  // 00000000878C: 68460F06
	v_readlane_b32 s82, v3, 2                                  // 000000008790: D2890052 00010503
	s_lshr_b32 s61, s82, 24                                    // 000000008798: 8F3D9852
	s_and_b32 s82, s82, 0xffffff                               // 00000000879C: 8652FF52 00FFFFFF
	s_mul_i32 s82, s82, s71                                    // 0000000087A4: 92524752
	s_mul_i32 s61, s60, s61                                    // 0000000087A8: 923D3D3C
	s_add_u32 s82, s82, s61                                    // 0000000087AC: 80523D52
	v_mul_lo_u32 v6, v5, s82                                   // 0000000087B0: D2850006 0000A505
	v_readlane_b32 s82, v3, 3                                  // 0000000087B8: D2890052 00010703
	s_lshr_b32 s61, s82, 24                                    // 0000000087C0: 8F3D9852
	s_and_b32 s82, s82, 0xffffff                               // 0000000087C4: 8652FF52 00FFFFFF
	s_mul_i32 s82, s82, s71                                    // 0000000087CC: 92524752
	s_mul_i32 s61, s60, s61                                    // 0000000087D0: 923D3D3C
	s_add_u32 s82, s82, s61                                    // 0000000087D4: 80523D52
	v_mul_lo_u32 v7, v4, s82                                   // 0000000087D8: D2850007 0000A504
	v_add_u32_e32 v36, v6, v7                                  // 0000000087E0: 68480F06
	v_and_b32_e32 v4, 31, v0                                   // 0000000087E4: 2608009F
	v_lshrrev_b32_e32 v4, 1, v4                                // 0000000087E8: 20080881
	s_cmp_eq_u32 s88, 0                                        // 0000000087EC: BF068058
	s_cselect_b32 s61, 2, 4                                    // 0000000087F0: 853D8482
	v_mul_lo_u32 v4, v4, s61                                   // 0000000087F4: D2850004 00007B04
	v_and_b32_e64 v5, v0, 1                                    // 0000000087FC: D1130005 00010300
	v_add_u32_e32 v4, v4, v5                                   // 000000008804: 68080B04
	v_lshlrev_b32_e32 v4, 2, v4                                // 000000008808: 24080882
	v_add_u32_e32 v35, v35, v4                                 // 00000000880C: 68460923
	v_add_u32_e32 v36, v36, v4                                 // 000000008810: 68480924
	s_waitcnt lgkmcnt(0)                                       // 000000008814: BF8CC07F
	s_barrier                                                  // 000000008818: BF8A0000
	ds_read_b32 v48, v21                                       // 00000000881C: D86C0000 30000015
	ds_read_b32 v49, v21 offset:64                             // 000000008824: D86C0040 31000015
	ds_read_b32 v50, v21 offset:2176                           // 00000000882C: D86C0880 32000015
	ds_read_b32 v51, v21 offset:2240                           // 000000008834: D86C08C0 33000015
	ds_read_b32 v52, v21 offset:4352                           // 00000000883C: D86C1100 34000015
	ds_read_b32 v53, v21 offset:4416                           // 000000008844: D86C1140 35000015
	ds_read_b32 v54, v21 offset:6528                           // 00000000884C: D86C1980 36000015
	ds_read_b32 v55, v21 offset:6592                           // 000000008854: D86C19C0 37000015
	ds_read_b32 v56, v21 offset:8704                           // 00000000885C: D86C2200 38000015
	ds_read_b32 v57, v21 offset:8768                           // 000000008864: D86C2240 39000015
	ds_read_b32 v58, v21 offset:10880                          // 00000000886C: D86C2A80 3A000015
	ds_read_b32 v59, v21 offset:10944                          // 000000008874: D86C2AC0 3B000015
	ds_read_b32 v60, v21 offset:13056                          // 00000000887C: D86C3300 3C000015
	ds_read_b32 v61, v21 offset:13120                          // 000000008884: D86C3340 3D000015
	ds_read_b32 v62, v21 offset:15232                          // 00000000888C: D86C3B80 3E000015
	ds_read_b32 v63, v21 offset:15296                          // 000000008894: D86C3BC0 3F000015
	s_waitcnt lgkmcnt(0)                                       // 00000000889C: BF8CC07F
	s_mov_b32 s36, -1                                          // 0000000088A0: BEA400C1
	s_mov_b32 s37, -1                                          // 0000000088A4: BEA500C1
	v_mov_b32_e32 v7, 0                                        // 0000000088A8: 7E0E0280
	s_or_b32 s9, s9, 0x40000                                   // 0000000088AC: 8709FF09 00040000
	s_mov_b64 exec, s[36:37]                                   // 0000000088B4: BEFE0124
	v_mov_b32_e32 v6, v35                                      // 0000000088B8: 7E0C0323
	s_mov_b64 s[60:61], 0                                      // 0000000088BC: BEBC0180
	v_readlane_b32 s82, v3, 0                                  // 0000000088C0: D2890052 00010103
	s_and_b32 s82, s82, 0xffffff                               // 0000000088C8: 8652FF52 00FFFFFF
	s_cmp_lt_u32 s82, s66                                      // 0000000088D0: BF0A4252
	s_cselect_b32 s20, s36, s60                                // 0000000088D4: 85143C24
	v_readlane_b32 s82, v3, 1                                  // 0000000088D8: D2890052 00010303
	s_and_b32 s82, s82, 0xffffff                               // 0000000088E0: 8652FF52 00FFFFFF
	s_cmp_lt_u32 s82, s66                                      // 0000000088E8: BF0A4252
	s_cselect_b32 s21, s36, s60                                // 0000000088EC: 85153C24
	s_mov_b64 exec, s[20:21]                                   // 0000000088F0: BEFE0114
	buffer_store_dword v48, v6, s[8:11], 0 offen               // 0000000088F4: E0701000 80023006
	buffer_store_dword v50, v6, s[8:11], 0 offen offset:128    // 0000000088FC: E0701080 80023206
	buffer_store_dword v52, v6, s[8:11], 0 offen offset:256    // 000000008904: E0701100 80023406
	buffer_store_dword v54, v6, s[8:11], 0 offen offset:384    // 00000000890C: E0701180 80023606
	buffer_store_dword v56, v6, s[8:11], 0 offen offset:512    // 000000008914: E0701200 80023806
	buffer_store_dword v58, v6, s[8:11], 0 offen offset:640    // 00000000891C: E0701280 80023A06
	buffer_store_dword v60, v6, s[8:11], 0 offen offset:768    // 000000008924: E0701300 80023C06
	buffer_store_dword v62, v6, s[8:11], 0 offen offset:896    // 00000000892C: E0701380 80023E06
	s_mov_b64 exec, s[36:37]                                   // 000000008934: BEFE0124
	v_mov_b32_e32 v6, v36                                      // 000000008938: 7E0C0324
	s_mov_b64 s[60:61], 0                                      // 00000000893C: BEBC0180
	v_readlane_b32 s82, v3, 2                                  // 000000008940: D2890052 00010503
	s_and_b32 s82, s82, 0xffffff                               // 000000008948: 8652FF52 00FFFFFF
	s_cmp_lt_u32 s82, s66                                      // 000000008950: BF0A4252
	s_cselect_b32 s20, s36, s60                                // 000000008954: 85143C24
	v_readlane_b32 s82, v3, 3                                  // 000000008958: D2890052 00010703
	s_and_b32 s82, s82, 0xffffff                               // 000000008960: 8652FF52 00FFFFFF
	s_cmp_lt_u32 s82, s66                                      // 000000008968: BF0A4252
	s_cselect_b32 s21, s36, s60                                // 00000000896C: 85153C24
	s_mov_b64 exec, s[20:21]                                   // 000000008970: BEFE0114
	buffer_store_dword v49, v6, s[8:11], 0 offen               // 000000008974: E0701000 80023106
	buffer_store_dword v51, v6, s[8:11], 0 offen offset:128    // 00000000897C: E0701080 80023306
	buffer_store_dword v53, v6, s[8:11], 0 offen offset:256    // 000000008984: E0701100 80023506
	buffer_store_dword v55, v6, s[8:11], 0 offen offset:384    // 00000000898C: E0701180 80023706
	buffer_store_dword v57, v6, s[8:11], 0 offen offset:512    // 000000008994: E0701200 80023906
	buffer_store_dword v59, v6, s[8:11], 0 offen offset:640    // 00000000899C: E0701280 80023B06
	buffer_store_dword v61, v6, s[8:11], 0 offen offset:768    // 0000000089A4: E0701300 80023D06
	buffer_store_dword v63, v6, s[8:11], 0 offen offset:896    // 0000000089AC: E0701380 80023F06
	s_mov_b64 exec, s[36:37]                                   // 0000000089B4: BEFE0124
	s_branch label_1A08                                        // 0000000089B8: BF820216

00000000000089bc <label_17F2>:
	ds_write_b64 v20, v[48:49]                                 // 0000000089BC: D89A0000 00003014
	ds_write_b64 v20, v[52:53] offset:2176                     // 0000000089C4: D89A0880 00003414
	ds_write_b64 v20, v[56:57] offset:4352                     // 0000000089CC: D89A1100 00003814
	ds_write_b64 v20, v[60:61] offset:6528                     // 0000000089D4: D89A1980 00003C14
	ds_write_b64 v20, v[64:65] offset:8704                     // 0000000089DC: D89A2200 00004014
	ds_write_b64 v20, v[68:69] offset:10880                    // 0000000089E4: D89A2A80 00004414
	ds_write_b64 v20, v[72:73] offset:13056                    // 0000000089EC: D89A3300 00004814
	ds_write_b64 v20, v[76:77] offset:15232                    // 0000000089F4: D89A3B80 00004C14
	v_lshrrev_b32_e32 v4, 5, v0                                // 0000000089FC: 20080085
	v_xor_b32_e32 v5, 1, v4                                    // 000000008A00: 2A0A0881
	s_mul_i32 s60, s65, 2                                      // 000000008A04: 923C8241
	s_cmp_eq_u32 s88, 0                                        // 000000008A08: BF068058
	s_cselect_b32 s61, 1, 4                                    // 000000008A0C: 853D8481
	s_mul_i32 s60, s61, s60                                    // 000000008A10: 923C3C3D
	v_readlane_b32 s82, v3, 0                                  // 000000008A14: D2890052 00010103
	s_lshr_b32 s61, s82, 24                                    // 000000008A1C: 8F3D9852
	s_and_b32 s82, s82, 0xffffff                               // 000000008A20: 8652FF52 00FFFFFF
	s_mul_i32 s82, s82, s71                                    // 000000008A28: 92524752
	s_mul_i32 s61, s60, s61                                    // 000000008A2C: 923D3D3C
	s_add_u32 s82, s82, s61                                    // 000000008A30: 80523D52
	v_mul_lo_u32 v6, v5, s82                                   // 000000008A34: D2850006 0000A505
	v_readlane_b32 s82, v3, 1                                  // 000000008A3C: D2890052 00010303
	s_lshr_b32 s61, s82, 24                                    // 000000008A44: 8F3D9852
	s_and_b32 s82, s82, 0xffffff                               // 000000008A48: 8652FF52 00FFFFFF
	s_mul_i32 s82, s82, s71                                    // 000000008A50: 92524752
	s_mul_i32 s61, s60, s61                                    // 000000008A54: 923D3D3C
	s_add_u32 s82, s82, s61                                    // 000000008A58: 80523D52
	v_mul_lo_u32 v7, v4, s82                                   // 000000008A5C: D2850007 0000A504
	v_add_u32_e32 v35, v6, v7                                  // 000000008A64: 68460F06
	v_readlane_b32 s82, v3, 2                                  // 000000008A68: D2890052 00010503
	s_lshr_b32 s61, s82, 24                                    // 000000008A70: 8F3D9852
	s_and_b32 s82, s82, 0xffffff                               // 000000008A74: 8652FF52 00FFFFFF
	s_mul_i32 s82, s82, s71                                    // 000000008A7C: 92524752
	s_mul_i32 s61, s60, s61                                    // 000000008A80: 923D3D3C
	s_add_u32 s82, s82, s61                                    // 000000008A84: 80523D52
	v_mul_lo_u32 v6, v5, s82                                   // 000000008A88: D2850006 0000A505
	v_readlane_b32 s82, v3, 3                                  // 000000008A90: D2890052 00010703
	s_lshr_b32 s61, s82, 24                                    // 000000008A98: 8F3D9852
	s_and_b32 s82, s82, 0xffffff                               // 000000008A9C: 8652FF52 00FFFFFF
	s_mul_i32 s82, s82, s71                                    // 000000008AA4: 92524752
	s_mul_i32 s61, s60, s61                                    // 000000008AA8: 923D3D3C
	s_add_u32 s82, s82, s61                                    // 000000008AAC: 80523D52
	v_mul_lo_u32 v7, v4, s82                                   // 000000008AB0: D2850007 0000A504
	v_add_u32_e32 v36, v6, v7                                  // 000000008AB8: 68480F06
	v_and_b32_e32 v4, 31, v0                                   // 000000008ABC: 2608009F
	v_lshrrev_b32_e32 v4, 1, v4                                // 000000008AC0: 20080881
	s_cmp_eq_u32 s88, 0                                        // 000000008AC4: BF068058
	s_cselect_b32 s61, 2, 4                                    // 000000008AC8: 853D8482
	v_mul_lo_u32 v4, v4, s61                                   // 000000008ACC: D2850004 00007B04
	v_and_b32_e64 v5, v0, 1                                    // 000000008AD4: D1130005 00010300
	v_add_u32_e32 v4, v4, v5                                   // 000000008ADC: 68080B04
	v_lshlrev_b32_e32 v4, 2, v4                                // 000000008AE0: 24080882
	v_add_u32_e32 v35, v35, v4                                 // 000000008AE4: 68460923
	v_add_u32_e32 v36, v36, v4                                 // 000000008AE8: 68480924
	s_waitcnt lgkmcnt(0)                                       // 000000008AEC: BF8CC07F
	s_barrier                                                  // 000000008AF0: BF8A0000
	ds_read_b32 v48, v21                                       // 000000008AF4: D86C0000 30000015
	ds_read_b32 v49, v21 offset:64                             // 000000008AFC: D86C0040 31000015
	ds_read_b32 v52, v21 offset:2176                           // 000000008B04: D86C0880 34000015
	ds_read_b32 v53, v21 offset:2240                           // 000000008B0C: D86C08C0 35000015
	ds_read_b32 v56, v21 offset:4352                           // 000000008B14: D86C1100 38000015
	ds_read_b32 v57, v21 offset:4416                           // 000000008B1C: D86C1140 39000015
	ds_read_b32 v60, v21 offset:6528                           // 000000008B24: D86C1980 3C000015
	ds_read_b32 v61, v21 offset:6592                           // 000000008B2C: D86C19C0 3D000015
	ds_read_b32 v64, v21 offset:8704                           // 000000008B34: D86C2200 40000015
	ds_read_b32 v65, v21 offset:8768                           // 000000008B3C: D86C2240 41000015
	ds_read_b32 v68, v21 offset:10880                          // 000000008B44: D86C2A80 44000015
	ds_read_b32 v69, v21 offset:10944                          // 000000008B4C: D86C2AC0 45000015
	ds_read_b32 v72, v21 offset:13056                          // 000000008B54: D86C3300 48000015
	ds_read_b32 v73, v21 offset:13120                          // 000000008B5C: D86C3340 49000015
	ds_read_b32 v76, v21 offset:15232                          // 000000008B64: D86C3B80 4C000015
	ds_read_b32 v77, v21 offset:15296                          // 000000008B6C: D86C3BC0 4D000015
	s_waitcnt lgkmcnt(0)                                       // 000000008B74: BF8CC07F
	s_mov_b32 s36, -1                                          // 000000008B78: BEA400C1
	s_mov_b32 s37, -1                                          // 000000008B7C: BEA500C1
	v_mov_b32_e32 v7, 0                                        // 000000008B80: 7E0E0280
	s_mov_b64 exec, s[36:37]                                   // 000000008B84: BEFE0124
	v_mov_b32_e32 v6, v35                                      // 000000008B88: 7E0C0323
	s_mov_b64 s[60:61], 0                                      // 000000008B8C: BEBC0180
	v_readlane_b32 s82, v3, 0                                  // 000000008B90: D2890052 00010103
	s_and_b32 s82, s82, 0xffffff                               // 000000008B98: 8652FF52 00FFFFFF
	s_cmp_lt_u32 s82, s66                                      // 000000008BA0: BF0A4252
	s_cselect_b32 s20, s36, s60                                // 000000008BA4: 85143C24
	v_readlane_b32 s82, v3, 1                                  // 000000008BA8: D2890052 00010303
	s_and_b32 s82, s82, 0xffffff                               // 000000008BB0: 8652FF52 00FFFFFF
	s_cmp_lt_u32 s82, s66                                      // 000000008BB8: BF0A4252
	s_cselect_b32 s21, s36, s60                                // 000000008BBC: 85153C24
	s_mov_b64 exec, s[20:21]                                   // 000000008BC0: BEFE0114
	global_atomic_add_f32 v6, v48, s[8:9]                      // 000000008BC4: DD348000 00083006
	global_atomic_add_f32 v6, v52, s[8:9] offset:256           // 000000008BCC: DD348100 00083406
	global_atomic_add_f32 v6, v56, s[8:9] offset:512           // 000000008BD4: DD348200 00083806
	global_atomic_add_f32 v6, v60, s[8:9] offset:768           // 000000008BDC: DD348300 00083C06
	global_atomic_add_f32 v6, v64, s[8:9] offset:1024          // 000000008BE4: DD348400 00084006
	global_atomic_add_f32 v6, v68, s[8:9] offset:1280          // 000000008BEC: DD348500 00084406
	global_atomic_add_f32 v6, v72, s[8:9] offset:1536          // 000000008BF4: DD348600 00084806
	global_atomic_add_f32 v6, v76, s[8:9] offset:1792          // 000000008BFC: DD348700 00084C06
	s_mov_b64 exec, s[36:37]                                   // 000000008C04: BEFE0124
	v_mov_b32_e32 v6, v36                                      // 000000008C08: 7E0C0324
	s_mov_b64 s[60:61], 0                                      // 000000008C0C: BEBC0180
	v_readlane_b32 s82, v3, 2                                  // 000000008C10: D2890052 00010503
	s_and_b32 s82, s82, 0xffffff                               // 000000008C18: 8652FF52 00FFFFFF
	s_cmp_lt_u32 s82, s66                                      // 000000008C20: BF0A4252
	s_cselect_b32 s20, s36, s60                                // 000000008C24: 85143C24
	v_readlane_b32 s82, v3, 3                                  // 000000008C28: D2890052 00010703
	s_and_b32 s82, s82, 0xffffff                               // 000000008C30: 8652FF52 00FFFFFF
	s_cmp_lt_u32 s82, s66                                      // 000000008C38: BF0A4252
	s_cselect_b32 s21, s36, s60                                // 000000008C3C: 85153C24
	s_mov_b64 exec, s[20:21]                                   // 000000008C40: BEFE0114
	global_atomic_add_f32 v6, v49, s[8:9]                      // 000000008C44: DD348000 00083106
	global_atomic_add_f32 v6, v53, s[8:9] offset:256           // 000000008C4C: DD348100 00083506
	global_atomic_add_f32 v6, v57, s[8:9] offset:512           // 000000008C54: DD348200 00083906
	global_atomic_add_f32 v6, v61, s[8:9] offset:768           // 000000008C5C: DD348300 00083D06
	global_atomic_add_f32 v6, v65, s[8:9] offset:1024          // 000000008C64: DD348400 00084106
	global_atomic_add_f32 v6, v69, s[8:9] offset:1280          // 000000008C6C: DD348500 00084506
	global_atomic_add_f32 v6, v73, s[8:9] offset:1536          // 000000008C74: DD348600 00084906
	global_atomic_add_f32 v6, v77, s[8:9] offset:1792          // 000000008C7C: DD348700 00084D06
	s_mov_b64 exec, s[36:37]                                   // 000000008C84: BEFE0124
	ds_write_b64 v20, v[50:51]                                 // 000000008C88: D89A0000 00003214
	ds_write_b64 v20, v[54:55] offset:2176                     // 000000008C90: D89A0880 00003614
	ds_write_b64 v20, v[58:59] offset:4352                     // 000000008C98: D89A1100 00003A14
	ds_write_b64 v20, v[62:63] offset:6528                     // 000000008CA0: D89A1980 00003E14
	ds_write_b64 v20, v[66:67] offset:8704                     // 000000008CA8: D89A2200 00004214
	ds_write_b64 v20, v[70:71] offset:10880                    // 000000008CB0: D89A2A80 00004614
	ds_write_b64 v20, v[74:75] offset:13056                    // 000000008CB8: D89A3300 00004A14
	ds_write_b64 v20, v[78:79] offset:15232                    // 000000008CC0: D89A3B80 00004E14
	s_waitcnt lgkmcnt(0)                                       // 000000008CC8: BF8CC07F
	s_barrier                                                  // 000000008CCC: BF8A0000
	ds_read_b32 v50, v21                                       // 000000008CD0: D86C0000 32000015
	ds_read_b32 v51, v21 offset:64                             // 000000008CD8: D86C0040 33000015
	ds_read_b32 v54, v21 offset:2176                           // 000000008CE0: D86C0880 36000015
	ds_read_b32 v55, v21 offset:2240                           // 000000008CE8: D86C08C0 37000015
	ds_read_b32 v58, v21 offset:4352                           // 000000008CF0: D86C1100 3A000015
	ds_read_b32 v59, v21 offset:4416                           // 000000008CF8: D86C1140 3B000015
	ds_read_b32 v62, v21 offset:6528                           // 000000008D00: D86C1980 3E000015
	ds_read_b32 v63, v21 offset:6592                           // 000000008D08: D86C19C0 3F000015
	ds_read_b32 v66, v21 offset:8704                           // 000000008D10: D86C2200 42000015
	ds_read_b32 v67, v21 offset:8768                           // 000000008D18: D86C2240 43000015
	ds_read_b32 v70, v21 offset:10880                          // 000000008D20: D86C2A80 46000015
	ds_read_b32 v71, v21 offset:10944                          // 000000008D28: D86C2AC0 47000015
	ds_read_b32 v74, v21 offset:13056                          // 000000008D30: D86C3300 4A000015
	ds_read_b32 v75, v21 offset:13120                          // 000000008D38: D86C3340 4B000015
	ds_read_b32 v78, v21 offset:15232                          // 000000008D40: D86C3B80 4E000015
	ds_read_b32 v79, v21 offset:15296                          // 000000008D48: D86C3BC0 4F000015
	s_waitcnt lgkmcnt(0)                                       // 000000008D50: BF8CC07F
	v_mov_b32_e32 v7, 0                                        // 000000008D54: 7E0E0280
	s_mov_b64 exec, s[36:37]                                   // 000000008D58: BEFE0124
	v_mov_b32_e32 v6, v35                                      // 000000008D5C: 7E0C0323
	s_mov_b64 s[60:61], 0                                      // 000000008D60: BEBC0180
	v_readlane_b32 s82, v3, 0                                  // 000000008D64: D2890052 00010103
	s_and_b32 s82, s82, 0xffffff                               // 000000008D6C: 8652FF52 00FFFFFF
	s_cmp_lt_u32 s82, s66                                      // 000000008D74: BF0A4252
	s_cselect_b32 s20, s36, s60                                // 000000008D78: 85143C24
	v_readlane_b32 s82, v3, 1                                  // 000000008D7C: D2890052 00010303
	s_and_b32 s82, s82, 0xffffff                               // 000000008D84: 8652FF52 00FFFFFF
	s_cmp_lt_u32 s82, s66                                      // 000000008D8C: BF0A4252
	s_cselect_b32 s21, s36, s60                                // 000000008D90: 85153C24
	s_mov_b64 exec, s[20:21]                                   // 000000008D94: BEFE0114
	global_atomic_add_f32 v6, v50, s[8:9] offset:8             // 000000008D98: DD348008 00083206
	global_atomic_add_f32 v6, v54, s[8:9] offset:264           // 000000008DA0: DD348108 00083606
	global_atomic_add_f32 v6, v58, s[8:9] offset:520           // 000000008DA8: DD348208 00083A06
	global_atomic_add_f32 v6, v62, s[8:9] offset:776           // 000000008DB0: DD348308 00083E06
	global_atomic_add_f32 v6, v66, s[8:9] offset:1032          // 000000008DB8: DD348408 00084206
	global_atomic_add_f32 v6, v70, s[8:9] offset:1288          // 000000008DC0: DD348508 00084606
	global_atomic_add_f32 v6, v74, s[8:9] offset:1544          // 000000008DC8: DD348608 00084A06
	global_atomic_add_f32 v6, v78, s[8:9] offset:1800          // 000000008DD0: DD348708 00084E06
	s_mov_b64 exec, s[36:37]                                   // 000000008DD8: BEFE0124
	v_mov_b32_e32 v6, v36                                      // 000000008DDC: 7E0C0324
	s_mov_b64 s[60:61], 0                                      // 000000008DE0: BEBC0180
	v_readlane_b32 s82, v3, 2                                  // 000000008DE4: D2890052 00010503
	s_and_b32 s82, s82, 0xffffff                               // 000000008DEC: 8652FF52 00FFFFFF
	s_cmp_lt_u32 s82, s66                                      // 000000008DF4: BF0A4252
	s_cselect_b32 s20, s36, s60                                // 000000008DF8: 85143C24
	v_readlane_b32 s82, v3, 3                                  // 000000008DFC: D2890052 00010703
	s_and_b32 s82, s82, 0xffffff                               // 000000008E04: 8652FF52 00FFFFFF
	s_cmp_lt_u32 s82, s66                                      // 000000008E0C: BF0A4252
	s_cselect_b32 s21, s36, s60                                // 000000008E10: 85153C24
	s_mov_b64 exec, s[20:21]                                   // 000000008E14: BEFE0114
	global_atomic_add_f32 v6, v51, s[8:9] offset:8             // 000000008E18: DD348008 00083306
	global_atomic_add_f32 v6, v55, s[8:9] offset:264           // 000000008E20: DD348108 00083706
	global_atomic_add_f32 v6, v59, s[8:9] offset:520           // 000000008E28: DD348208 00083B06
	global_atomic_add_f32 v6, v63, s[8:9] offset:776           // 000000008E30: DD348308 00083F06
	global_atomic_add_f32 v6, v67, s[8:9] offset:1032          // 000000008E38: DD348408 00084306
	global_atomic_add_f32 v6, v71, s[8:9] offset:1288          // 000000008E40: DD348508 00084706
	global_atomic_add_f32 v6, v75, s[8:9] offset:1544          // 000000008E48: DD348608 00084B06
	global_atomic_add_f32 v6, v79, s[8:9] offset:1800          // 000000008E50: DD348708 00084F06
	s_mov_b64 exec, s[36:37]                                   // 000000008E58: BEFE0124
	ds_write_b64 v20, v[80:81]                                 // 000000008E5C: D89A0000 00005014
	ds_write_b64 v20, v[84:85] offset:2176                     // 000000008E64: D89A0880 00005414
	ds_write_b64 v20, v[88:89] offset:4352                     // 000000008E6C: D89A1100 00005814
	ds_write_b64 v20, v[92:93] offset:6528                     // 000000008E74: D89A1980 00005C14
	ds_write_b64 v20, v[96:97] offset:8704                     // 000000008E7C: D89A2200 00006014
	ds_write_b64 v20, v[100:101] offset:10880                  // 000000008E84: D89A2A80 00006414
	ds_write_b64 v20, v[104:105] offset:13056                  // 000000008E8C: D89A3300 00006814
	ds_write_b64 v20, v[108:109] offset:15232                  // 000000008E94: D89A3B80 00006C14
	s_waitcnt lgkmcnt(0)                                       // 000000008E9C: BF8CC07F
	s_barrier                                                  // 000000008EA0: BF8A0000
	ds_read_b32 v80, v21                                       // 000000008EA4: D86C0000 50000015
	ds_read_b32 v81, v21 offset:64                             // 000000008EAC: D86C0040 51000015
	ds_read_b32 v84, v21 offset:2176                           // 000000008EB4: D86C0880 54000015
	ds_read_b32 v85, v21 offset:2240                           // 000000008EBC: D86C08C0 55000015
	ds_read_b32 v88, v21 offset:4352                           // 000000008EC4: D86C1100 58000015
	ds_read_b32 v89, v21 offset:4416                           // 000000008ECC: D86C1140 59000015
	ds_read_b32 v92, v21 offset:6528                           // 000000008ED4: D86C1980 5C000015
	ds_read_b32 v93, v21 offset:6592                           // 000000008EDC: D86C19C0 5D000015
	ds_read_b32 v96, v21 offset:8704                           // 000000008EE4: D86C2200 60000015
	ds_read_b32 v97, v21 offset:8768                           // 000000008EEC: D86C2240 61000015
	ds_read_b32 v100, v21 offset:10880                         // 000000008EF4: D86C2A80 64000015
	ds_read_b32 v101, v21 offset:10944                         // 000000008EFC: D86C2AC0 65000015
	ds_read_b32 v104, v21 offset:13056                         // 000000008F04: D86C3300 68000015
	ds_read_b32 v105, v21 offset:13120                         // 000000008F0C: D86C3340 69000015
	ds_read_b32 v108, v21 offset:15232                         // 000000008F14: D86C3B80 6C000015
	ds_read_b32 v109, v21 offset:15296                         // 000000008F1C: D86C3BC0 6D000015
	s_mul_i32 s60, s65, 4                                      // 000000008F24: 923C8441
	s_add_u32 s8, s60, s8                                      // 000000008F28: 8008083C
	s_addc_u32 s9, 0, s9                                       // 000000008F2C: 82090980
	s_waitcnt lgkmcnt(0)                                       // 000000008F30: BF8CC07F
	v_mov_b32_e32 v7, 0                                        // 000000008F34: 7E0E0280
	s_mov_b64 exec, s[36:37]                                   // 000000008F38: BEFE0124
	v_mov_b32_e32 v6, v35                                      // 000000008F3C: 7E0C0323
	s_mov_b64 s[60:61], 0                                      // 000000008F40: BEBC0180
	v_readlane_b32 s82, v3, 0                                  // 000000008F44: D2890052 00010103
	s_and_b32 s82, s82, 0xffffff                               // 000000008F4C: 8652FF52 00FFFFFF
	s_cmp_lt_u32 s82, s66                                      // 000000008F54: BF0A4252
	s_cselect_b32 s20, s36, s60                                // 000000008F58: 85143C24
	v_readlane_b32 s82, v3, 1                                  // 000000008F5C: D2890052 00010303
	s_and_b32 s82, s82, 0xffffff                               // 000000008F64: 8652FF52 00FFFFFF
	s_cmp_lt_u32 s82, s66                                      // 000000008F6C: BF0A4252
	s_cselect_b32 s21, s36, s60                                // 000000008F70: 85153C24
	s_mov_b64 exec, s[20:21]                                   // 000000008F74: BEFE0114
	global_atomic_add_f32 v6, v80, s[8:9]                      // 000000008F78: DD348000 00085006
	global_atomic_add_f32 v6, v84, s[8:9] offset:256           // 000000008F80: DD348100 00085406
	global_atomic_add_f32 v6, v88, s[8:9] offset:512           // 000000008F88: DD348200 00085806
	global_atomic_add_f32 v6, v92, s[8:9] offset:768           // 000000008F90: DD348300 00085C06
	global_atomic_add_f32 v6, v96, s[8:9] offset:1024          // 000000008F98: DD348400 00086006
	global_atomic_add_f32 v6, v100, s[8:9] offset:1280         // 000000008FA0: DD348500 00086406
	global_atomic_add_f32 v6, v104, s[8:9] offset:1536         // 000000008FA8: DD348600 00086806
	global_atomic_add_f32 v6, v108, s[8:9] offset:1792         // 000000008FB0: DD348700 00086C06
	s_mov_b64 exec, s[36:37]                                   // 000000008FB8: BEFE0124
	v_mov_b32_e32 v6, v36                                      // 000000008FBC: 7E0C0324
	s_mov_b64 s[60:61], 0                                      // 000000008FC0: BEBC0180
	v_readlane_b32 s82, v3, 2                                  // 000000008FC4: D2890052 00010503
	s_and_b32 s82, s82, 0xffffff                               // 000000008FCC: 8652FF52 00FFFFFF
	s_cmp_lt_u32 s82, s66                                      // 000000008FD4: BF0A4252
	s_cselect_b32 s20, s36, s60                                // 000000008FD8: 85143C24
	v_readlane_b32 s82, v3, 3                                  // 000000008FDC: D2890052 00010703
	s_and_b32 s82, s82, 0xffffff                               // 000000008FE4: 8652FF52 00FFFFFF
	s_cmp_lt_u32 s82, s66                                      // 000000008FEC: BF0A4252
	s_cselect_b32 s21, s36, s60                                // 000000008FF0: 85153C24
	s_mov_b64 exec, s[20:21]                                   // 000000008FF4: BEFE0114
	global_atomic_add_f32 v6, v81, s[8:9]                      // 000000008FF8: DD348000 00085106
	global_atomic_add_f32 v6, v85, s[8:9] offset:256           // 000000009000: DD348100 00085506
	global_atomic_add_f32 v6, v89, s[8:9] offset:512           // 000000009008: DD348200 00085906
	global_atomic_add_f32 v6, v93, s[8:9] offset:768           // 000000009010: DD348300 00085D06
	global_atomic_add_f32 v6, v97, s[8:9] offset:1024          // 000000009018: DD348400 00086106
	global_atomic_add_f32 v6, v101, s[8:9] offset:1280         // 000000009020: DD348500 00086506
	global_atomic_add_f32 v6, v105, s[8:9] offset:1536         // 000000009028: DD348600 00086906
	global_atomic_add_f32 v6, v109, s[8:9] offset:1792         // 000000009030: DD348700 00086D06
	s_mov_b64 exec, s[36:37]                                   // 000000009038: BEFE0124
	ds_write_b64 v20, v[82:83]                                 // 00000000903C: D89A0000 00005214
	ds_write_b64 v20, v[86:87] offset:2176                     // 000000009044: D89A0880 00005614
	ds_write_b64 v20, v[90:91] offset:4352                     // 00000000904C: D89A1100 00005A14
	ds_write_b64 v20, v[94:95] offset:6528                     // 000000009054: D89A1980 00005E14
	ds_write_b64 v20, v[98:99] offset:8704                     // 00000000905C: D89A2200 00006214
	ds_write_b64 v20, v[102:103] offset:10880                  // 000000009064: D89A2A80 00006614
	ds_write_b64 v20, v[106:107] offset:13056                  // 00000000906C: D89A3300 00006A14
	ds_write_b64 v20, v[110:111] offset:15232                  // 000000009074: D89A3B80 00006E14
	s_waitcnt lgkmcnt(0)                                       // 00000000907C: BF8CC07F
	s_barrier                                                  // 000000009080: BF8A0000
	ds_read_b32 v82, v21                                       // 000000009084: D86C0000 52000015
	ds_read_b32 v83, v21 offset:64                             // 00000000908C: D86C0040 53000015
	ds_read_b32 v86, v21 offset:2176                           // 000000009094: D86C0880 56000015
	ds_read_b32 v87, v21 offset:2240                           // 00000000909C: D86C08C0 57000015
	ds_read_b32 v90, v21 offset:4352                           // 0000000090A4: D86C1100 5A000015
	ds_read_b32 v91, v21 offset:4416                           // 0000000090AC: D86C1140 5B000015
	ds_read_b32 v94, v21 offset:6528                           // 0000000090B4: D86C1980 5E000015
	ds_read_b32 v95, v21 offset:6592                           // 0000000090BC: D86C19C0 5F000015
	ds_read_b32 v98, v21 offset:8704                           // 0000000090C4: D86C2200 62000015
	ds_read_b32 v99, v21 offset:8768                           // 0000000090CC: D86C2240 63000015
	ds_read_b32 v102, v21 offset:10880                         // 0000000090D4: D86C2A80 66000015
	ds_read_b32 v103, v21 offset:10944                         // 0000000090DC: D86C2AC0 67000015
	ds_read_b32 v106, v21 offset:13056                         // 0000000090E4: D86C3300 6A000015
	ds_read_b32 v107, v21 offset:13120                         // 0000000090EC: D86C3340 6B000015
	ds_read_b32 v110, v21 offset:15232                         // 0000000090F4: D86C3B80 6E000015
	ds_read_b32 v111, v21 offset:15296                         // 0000000090FC: D86C3BC0 6F000015
	s_waitcnt lgkmcnt(0)                                       // 000000009104: BF8CC07F
	v_mov_b32_e32 v7, 0                                        // 000000009108: 7E0E0280
	s_mov_b64 exec, s[36:37]                                   // 00000000910C: BEFE0124
	v_mov_b32_e32 v6, v35                                      // 000000009110: 7E0C0323
	s_mov_b64 s[60:61], 0                                      // 000000009114: BEBC0180
	v_readlane_b32 s82, v3, 0                                  // 000000009118: D2890052 00010103
	s_and_b32 s82, s82, 0xffffff                               // 000000009120: 8652FF52 00FFFFFF
	s_cmp_lt_u32 s82, s66                                      // 000000009128: BF0A4252
	s_cselect_b32 s20, s36, s60                                // 00000000912C: 85143C24
	v_readlane_b32 s82, v3, 1                                  // 000000009130: D2890052 00010303
	s_and_b32 s82, s82, 0xffffff                               // 000000009138: 8652FF52 00FFFFFF
	s_cmp_lt_u32 s82, s66                                      // 000000009140: BF0A4252
	s_cselect_b32 s21, s36, s60                                // 000000009144: 85153C24
	s_mov_b64 exec, s[20:21]                                   // 000000009148: BEFE0114
	global_atomic_add_f32 v6, v82, s[8:9] offset:8             // 00000000914C: DD348008 00085206
	global_atomic_add_f32 v6, v86, s[8:9] offset:264           // 000000009154: DD348108 00085606
	global_atomic_add_f32 v6, v90, s[8:9] offset:520           // 00000000915C: DD348208 00085A06
	global_atomic_add_f32 v6, v94, s[8:9] offset:776           // 000000009164: DD348308 00085E06
	global_atomic_add_f32 v6, v98, s[8:9] offset:1032          // 00000000916C: DD348408 00086206
	global_atomic_add_f32 v6, v102, s[8:9] offset:1288         // 000000009174: DD348508 00086606
	global_atomic_add_f32 v6, v106, s[8:9] offset:1544         // 00000000917C: DD348608 00086A06
	global_atomic_add_f32 v6, v110, s[8:9] offset:1800         // 000000009184: DD348708 00086E06
	s_mov_b64 exec, s[36:37]                                   // 00000000918C: BEFE0124
	v_mov_b32_e32 v6, v36                                      // 000000009190: 7E0C0324
	s_mov_b64 s[60:61], 0                                      // 000000009194: BEBC0180
	v_readlane_b32 s82, v3, 2                                  // 000000009198: D2890052 00010503
	s_and_b32 s82, s82, 0xffffff                               // 0000000091A0: 8652FF52 00FFFFFF
	s_cmp_lt_u32 s82, s66                                      // 0000000091A8: BF0A4252
	s_cselect_b32 s20, s36, s60                                // 0000000091AC: 85143C24
	v_readlane_b32 s82, v3, 3                                  // 0000000091B0: D2890052 00010703
	s_and_b32 s82, s82, 0xffffff                               // 0000000091B8: 8652FF52 00FFFFFF
	s_cmp_lt_u32 s82, s66                                      // 0000000091C0: BF0A4252
	s_cselect_b32 s21, s36, s60                                // 0000000091C4: 85153C24
	s_mov_b64 exec, s[20:21]                                   // 0000000091C8: BEFE0114
	global_atomic_add_f32 v6, v83, s[8:9] offset:8             // 0000000091CC: DD348008 00085306
	global_atomic_add_f32 v6, v87, s[8:9] offset:264           // 0000000091D4: DD348108 00085706
	global_atomic_add_f32 v6, v91, s[8:9] offset:520           // 0000000091DC: DD348208 00085B06
	global_atomic_add_f32 v6, v95, s[8:9] offset:776           // 0000000091E4: DD348308 00085F06
	global_atomic_add_f32 v6, v99, s[8:9] offset:1032          // 0000000091EC: DD348408 00086306
	global_atomic_add_f32 v6, v103, s[8:9] offset:1288         // 0000000091F4: DD348508 00086706
	global_atomic_add_f32 v6, v107, s[8:9] offset:1544         // 0000000091FC: DD348608 00086B06
	global_atomic_add_f32 v6, v111, s[8:9] offset:1800         // 000000009204: DD348708 00086F06
	s_mov_b64 exec, s[36:37]                                   // 00000000920C: BEFE0124
	s_branch label_1A08                                        // 000000009210: BF820000

0000000000009214 <label_1A08>:
	s_waitcnt vmcnt(0) expcnt(0) lgkmcnt(0)                    // 000000009214: BF8C0000
	s_endpgm                                                   // 000000009218: BF810000
